;; amdgpu-corpus repo=pytorch/pytorch kind=compiled arch=gfx1030 opt=O3
	.amdgcn_target "amdgcn-amd-amdhsa--gfx1030"
	.amdhsa_code_object_version 6
	.section	.text._ZN2at6native12_GLOBAL__N_128conv_depthwise3d_cuda_kernelIddLi3ELi3ELi3ELi1ELi1ELi1EEEvN5torch10headeronly6detail27GenericPackedTensorAccessorINS5_14TensorAccessorIN3c108ArrayRefIlEEKT_Lm4ENS4_16DefaultPtrTraitsEiEENS_6detail16IndexBoundsCheckILm5EiEESC_Lm5ESD_iEENS6_INS7_ISA_SB_Lm4ESD_iEESH_SB_Lm5ESD_iEESI_PSC_iiiiiiiii,"axG",@progbits,_ZN2at6native12_GLOBAL__N_128conv_depthwise3d_cuda_kernelIddLi3ELi3ELi3ELi1ELi1ELi1EEEvN5torch10headeronly6detail27GenericPackedTensorAccessorINS5_14TensorAccessorIN3c108ArrayRefIlEEKT_Lm4ENS4_16DefaultPtrTraitsEiEENS_6detail16IndexBoundsCheckILm5EiEESC_Lm5ESD_iEENS6_INS7_ISA_SB_Lm4ESD_iEESH_SB_Lm5ESD_iEESI_PSC_iiiiiiiii,comdat
	.globl	_ZN2at6native12_GLOBAL__N_128conv_depthwise3d_cuda_kernelIddLi3ELi3ELi3ELi1ELi1ELi1EEEvN5torch10headeronly6detail27GenericPackedTensorAccessorINS5_14TensorAccessorIN3c108ArrayRefIlEEKT_Lm4ENS4_16DefaultPtrTraitsEiEENS_6detail16IndexBoundsCheckILm5EiEESC_Lm5ESD_iEENS6_INS7_ISA_SB_Lm4ESD_iEESH_SB_Lm5ESD_iEESI_PSC_iiiiiiiii ; -- Begin function _ZN2at6native12_GLOBAL__N_128conv_depthwise3d_cuda_kernelIddLi3ELi3ELi3ELi1ELi1ELi1EEEvN5torch10headeronly6detail27GenericPackedTensorAccessorINS5_14TensorAccessorIN3c108ArrayRefIlEEKT_Lm4ENS4_16DefaultPtrTraitsEiEENS_6detail16IndexBoundsCheckILm5EiEESC_Lm5ESD_iEENS6_INS7_ISA_SB_Lm4ESD_iEESH_SB_Lm5ESD_iEESI_PSC_iiiiiiiii
	.p2align	8
	.type	_ZN2at6native12_GLOBAL__N_128conv_depthwise3d_cuda_kernelIddLi3ELi3ELi3ELi1ELi1ELi1EEEvN5torch10headeronly6detail27GenericPackedTensorAccessorINS5_14TensorAccessorIN3c108ArrayRefIlEEKT_Lm4ENS4_16DefaultPtrTraitsEiEENS_6detail16IndexBoundsCheckILm5EiEESC_Lm5ESD_iEENS6_INS7_ISA_SB_Lm4ESD_iEESH_SB_Lm5ESD_iEESI_PSC_iiiiiiiii,@function
_ZN2at6native12_GLOBAL__N_128conv_depthwise3d_cuda_kernelIddLi3ELi3ELi3ELi1ELi1ELi1EEEvN5torch10headeronly6detail27GenericPackedTensorAccessorINS5_14TensorAccessorIN3c108ArrayRefIlEEKT_Lm4ENS4_16DefaultPtrTraitsEiEENS_6detail16IndexBoundsCheckILm5EiEESC_Lm5ESD_iEENS6_INS7_ISA_SB_Lm4ESD_iEESH_SB_Lm5ESD_iEESI_PSC_iiiiiiiii: ; @_ZN2at6native12_GLOBAL__N_128conv_depthwise3d_cuda_kernelIddLi3ELi3ELi3ELi1ELi1ELi1EEEvN5torch10headeronly6detail27GenericPackedTensorAccessorINS5_14TensorAccessorIN3c108ArrayRefIlEEKT_Lm4ENS4_16DefaultPtrTraitsEiEENS_6detail16IndexBoundsCheckILm5EiEESC_Lm5ESD_iEENS6_INS7_ISA_SB_Lm4ESD_iEESH_SB_Lm5ESD_iEESI_PSC_iiiiiiiii
; %bb.0:
	s_clause 0x3
	s_load_dwordx4 s[16:19], s[4:5], 0xc
	s_load_dwordx2 s[14:15], s[4:5], 0x48
	s_load_dword s3, s[4:5], 0xcc
	s_load_dwordx4 s[20:23], s[4:5], 0x38
	v_mov_b32_e32 v9, 0
	s_waitcnt lgkmcnt(0)
	s_abs_i32 s2, s16
	s_add_u32 s0, s4, 0xc0
	v_cvt_f32_u32_e32 v1, s2
	s_addc_u32 s1, s5, 0
	s_and_b32 s8, s3, 0xffff
	s_mul_i32 s34, s15, s20
	s_mul_i32 s33, s8, s6
	v_rcp_iflag_f32_e32 v1, v1
	s_mul_hi_u32 s20, s8, s6
	s_ashr_i32 s35, s34, 31
	s_mov_b32 s6, exec_lo
	v_mul_f32_e32 v3, 0x4f7ffffe, v1
	v_add_co_u32 v1, s3, s33, v0
	v_add_co_ci_u32_e64 v2, null, s20, 0, s3
	v_cvt_u32_f32_e32 v3, v3
	v_readfirstlane_b32 s3, v3
	v_cmpx_gt_i64_e64 s[34:35], v[1:2]
	s_cbranch_execz .LBB0_59
; %bb.1:
	s_sub_i32 s6, 0, s2
	s_abs_i32 s55, s21
	s_mul_i32 s6, s6, s3
	s_load_dwordx2 s[40:41], s[4:5], 0x90
	s_mul_hi_u32 s6, s3, s6
	s_ashr_i32 s54, s21, 31
	s_add_i32 s3, s3, s6
	s_ashr_i32 s6, s16, 31
	s_mul_hi_u32 s3, s55, s3
	s_xor_b32 s9, s54, s6
	s_mul_i32 s7, s3, s2
	s_load_dword s16, s[4:5], 0x7c
	s_sub_i32 s6, s55, s7
	s_add_i32 s7, s3, 1
	s_sub_i32 s10, s6, s2
	s_cmp_ge_u32 s6, s2
	v_cvt_f32_u32_e32 v4, s55
	s_cselect_b32 s3, s7, s3
	s_cselect_b32 s6, s10, s6
	s_add_i32 s7, s3, 1
	s_cmp_ge_u32 s6, s2
	v_rcp_iflag_f32_e32 v4, v4
	s_cselect_b32 s2, s7, s3
	s_add_i32 s6, s18, -3
	s_xor_b32 s2, s2, s9
	s_mul_i32 s6, s19, s6
	s_ashr_i32 s3, s19, 31
	s_sub_i32 s9, s2, s9
	s_ashr_i32 s7, s6, 31
	s_waitcnt lgkmcnt(0)
	s_cmp_lg_u64 s[40:41], 0
	s_clause 0x1
	s_load_dwordx4 s[24:27], s[4:5], 0x98
	s_load_dwordx2 s[42:43], s[4:5], 0xa8
	s_cselect_b32 s56, -1, 0
	s_abs_i32 s57, s14
	s_abs_i32 s58, s23
	v_cvt_f32_u32_e32 v1, s57
	v_cvt_f32_u32_e32 v2, s58
	s_abs_i32 s60, s22
	s_abs_i32 s61, s9
	v_cvt_f32_u32_e32 v3, s60
	v_rcp_iflag_f32_e32 v1, v1
	v_cvt_f32_u32_e32 v5, s61
	v_rcp_iflag_f32_e32 v2, v2
	v_mul_f32_e32 v4, 0x4f7ffffe, v4
	v_rcp_iflag_f32_e32 v3, v3
	s_load_dword s0, s[0:1], 0x0
	v_rcp_iflag_f32_e32 v5, v5
	s_sub_i32 s1, 0, s57
	v_cvt_u32_f32_e32 v4, v4
	s_sub_i32 s2, 0, s61
	v_mul_f32_e32 v1, 0x4f7ffffe, v1
	s_clause 0x1
	s_load_dwordx2 s[44:45], s[4:5], 0x0
	s_load_dwordx4 s[28:31], s[4:5], 0x1c
	v_mul_f32_e32 v2, 0x4f7ffffe, v2
	s_clause 0x1
	s_load_dword s62, s[4:5], 0x2c
	s_load_dwordx2 s[46:47], s[4:5], 0x30
	v_mul_f32_e32 v3, 0x4f7ffffe, v3
	v_cvt_u32_f32_e32 v1, v1
	v_mul_f32_e32 v5, 0x4f7ffffe, v5
	v_cvt_u32_f32_e32 v2, v2
	s_clause 0x1
	s_load_dwordx2 s[48:49], s[4:5], 0x60
	s_load_dwordx4 s[36:39], s[4:5], 0x50
	v_cvt_u32_f32_e32 v3, v3
	v_mul_lo_u32 v6, s1, v1
	s_sub_i32 s1, 0, s58
	v_cvt_u32_f32_e32 v5, v5
	v_mul_lo_u32 v7, s1, v2
	s_sub_i32 s1, 0, s60
	s_mov_b32 s59, 0
	v_mul_lo_u32 v8, s1, v3
	s_sub_i32 s1, 0, s55
	v_mul_lo_u32 v11, s2, v5
	v_mul_lo_u32 v10, s1, v4
	v_mul_hi_u32 v6, v1, v6
	v_mul_hi_u32 v7, v2, v7
	s_mov_b32 s2, s19
	s_waitcnt lgkmcnt(0)
	s_mul_i32 s63, s0, s8
	v_mul_hi_u32 v8, v3, v8
	s_ashr_i32 s64, s14, 31
	v_mul_hi_u32 v14, v5, v11
	v_mul_hi_u32 v13, v4, v10
	v_add_nc_u32_e32 v10, v1, v6
	v_add_nc_u32_e32 v11, v2, v7
	s_ashr_i32 s65, s23, 31
	s_ashr_i32 s66, s22, 31
	v_add_nc_u32_e32 v12, v3, v8
	s_ashr_i32 s67, s9, 31
	v_add_nc_u32_e32 v14, v5, v14
	v_add_nc_u32_e32 v13, v4, v13
	s_lshl_b64 s[50:51], s[2:3], 3
	s_lshl_b64 s[52:53], s[6:7], 3
	s_branch .LBB0_3
.LBB0_2:                                ;   in Loop: Header=BB0_3 Depth=1
	v_mul_lo_u32 v5, v16, s15
	v_mul_lo_u32 v1, s36, v1
	;; [unrolled: 1-line block ×4, first 2 shown]
	v_add_co_u32 v0, vcc_lo, v0, s63
	v_mul_lo_u32 v18, s39, v15
	v_add_co_ci_u32_e64 v9, null, 0, v9, vcc_lo
	v_ashrrev_i32_e32 v6, 31, v5
	v_ashrrev_i32_e32 v2, 31, v1
	;; [unrolled: 1-line block ×4, first 2 shown]
	v_lshlrev_b64 v[5:6], 3, v[5:6]
	v_lshlrev_b64 v[1:2], 3, v[1:2]
	v_ashrrev_i32_e32 v19, 31, v18
	v_add_co_u32 v15, vcc_lo, s46, v5
	v_add_co_ci_u32_e64 v20, null, s47, v6, vcc_lo
	v_lshlrev_b64 v[5:6], 3, v[7:8]
	v_add_co_u32 v7, vcc_lo, v15, v1
	v_add_co_ci_u32_e64 v8, null, v20, v2, vcc_lo
	v_lshlrev_b64 v[1:2], 3, v[16:17]
	v_add_co_u32 v15, vcc_lo, v7, v5
	v_add_co_ci_u32_e64 v16, null, v8, v6, vcc_lo
	v_add_co_u32 v7, vcc_lo, s33, v0
	v_lshlrev_b64 v[5:6], 3, v[18:19]
	v_add_co_ci_u32_e64 v8, null, s20, v9, vcc_lo
	v_add_co_u32 v1, vcc_lo, v15, v1
	v_add_co_ci_u32_e64 v2, null, v16, v2, vcc_lo
	v_cmp_le_i64_e32 vcc_lo, s[34:35], v[7:8]
	v_add_co_u32 v1, s0, v1, v5
	v_add_co_ci_u32_e64 v2, null, v2, v6, s0
	s_or_b32 s59, vcc_lo, s59
	global_store_dwordx2 v[1:2], v[3:4], off
	s_andn2_b32 exec_lo, exec_lo, s59
	s_cbranch_execz .LBB0_59
.LBB0_3:                                ; =>This Inner Loop Header: Depth=1
	v_add_nc_u32_e32 v2, s33, v0
	v_sub_nc_u32_e32 v1, 0, v2
	v_max_i32_e32 v1, v2, v1
	v_mul_hi_u32 v3, v1, v10
	v_mul_lo_u32 v4, v3, s57
	v_sub_nc_u32_e32 v1, v1, v4
	v_add_nc_u32_e32 v4, 1, v3
	v_subrev_nc_u32_e32 v5, s57, v1
	v_cmp_le_u32_e32 vcc_lo, s57, v1
	v_cndmask_b32_e32 v3, v3, v4, vcc_lo
	v_cndmask_b32_e32 v1, v1, v5, vcc_lo
	v_ashrrev_i32_e32 v4, 31, v2
	v_add_nc_u32_e32 v5, 1, v3
	v_cmp_le_u32_e32 vcc_lo, s57, v1
	v_xor_b32_e32 v4, s64, v4
	v_cndmask_b32_e32 v1, v3, v5, vcc_lo
	v_xor_b32_e32 v1, v1, v4
	v_sub_nc_u32_e32 v3, v1, v4
	v_sub_nc_u32_e32 v1, 0, v3
	v_max_i32_e32 v1, v3, v1
	v_mul_hi_u32 v4, v1, v11
	v_mul_lo_u32 v5, v4, s58
	v_sub_nc_u32_e32 v1, v1, v5
	v_add_nc_u32_e32 v5, 1, v4
	v_subrev_nc_u32_e32 v6, s58, v1
	v_cmp_le_u32_e32 vcc_lo, s58, v1
	v_cndmask_b32_e32 v4, v4, v5, vcc_lo
	v_cndmask_b32_e32 v1, v1, v6, vcc_lo
	v_ashrrev_i32_e32 v5, 31, v3
	v_add_nc_u32_e32 v6, 1, v4
	v_cmp_le_u32_e32 vcc_lo, s58, v1
	v_xor_b32_e32 v5, s65, v5
	v_cndmask_b32_e32 v1, v4, v6, vcc_lo
	v_xor_b32_e32 v1, v1, v5
	v_sub_nc_u32_e32 v4, v1, v5
	;; [unrolled: 17-line block ×3, first 2 shown]
	v_sub_nc_u32_e32 v1, 0, v6
	v_max_i32_e32 v1, v6, v1
	v_mul_hi_u32 v5, v1, v13
	v_mul_lo_u32 v7, v5, s55
	v_sub_nc_u32_e32 v1, v1, v7
	v_add_nc_u32_e32 v7, 1, v5
	v_subrev_nc_u32_e32 v8, s55, v1
	v_cmp_le_u32_e32 vcc_lo, s55, v1
	v_cndmask_b32_e32 v5, v5, v7, vcc_lo
	v_cndmask_b32_e32 v1, v1, v8, vcc_lo
	v_ashrrev_i32_e32 v7, 31, v6
	v_add_nc_u32_e32 v8, 1, v5
	v_cmp_le_u32_e32 vcc_lo, s55, v1
	v_xor_b32_e32 v7, s54, v7
	v_cndmask_b32_e32 v1, v5, v8, vcc_lo
	v_mul_lo_u32 v5, v3, s14
	v_mul_lo_u32 v8, v4, s23
	v_xor_b32_e32 v1, v1, v7
	v_sub_nc_u32_e32 v15, v2, v5
	v_sub_nc_u32_e32 v16, v1, v7
	;; [unrolled: 1-line block ×3, first 2 shown]
	v_mul_lo_u32 v5, v15, s26
	v_mul_lo_u32 v1, v16, s21
	;; [unrolled: 1-line block ×3, first 2 shown]
	v_subrev_nc_u32_e32 v21, s43, v5
	v_sub_nc_u32_e32 v1, v6, v1
	v_subrev_nc_u32_e32 v20, s42, v8
	v_mul_lo_u32 v5, s62, v21
	v_sub_nc_u32_e32 v7, 0, v1
	v_cmp_gt_i32_e64 s5, s18, v20
	v_cmp_lt_i32_e64 s6, -1, v20
	v_max_i32_e32 v7, v1, v7
	v_mul_hi_u32 v2, v7, v14
	v_mul_lo_u32 v18, v2, s61
	v_sub_nc_u32_e32 v3, v7, v18
	v_mul_lo_u32 v7, v6, s22
	v_add_nc_u32_e32 v6, 1, v2
	v_subrev_nc_u32_e32 v19, s61, v3
	v_cmp_le_u32_e32 vcc_lo, s61, v3
	v_sub_nc_u32_e32 v18, v4, v7
	v_mul_lo_u32 v7, s31, v20
	v_cndmask_b32_e32 v22, v2, v6, vcc_lo
	v_cndmask_b32_e32 v3, v3, v19, vcc_lo
	v_ashrrev_i32_e32 v2, 31, v1
	v_ashrrev_i32_e32 v6, 31, v5
	v_mul_lo_u32 v8, v18, s24
	v_add_nc_u32_e32 v4, 1, v22
	v_cmp_le_u32_e32 vcc_lo, s61, v3
	v_xor_b32_e32 v24, s67, v2
	v_cndmask_b32_e32 v19, v22, v4, vcc_lo
	v_lshlrev_b64 v[22:23], 3, v[5:6]
	v_mul_lo_u32 v5, s28, v16
	v_cmp_gt_i32_e32 vcc_lo, s19, v21
	v_mov_b32_e32 v3, 0
	v_xor_b32_e32 v25, v19, v24
	v_subrev_nc_u32_e32 v19, s27, v8
	v_ashrrev_i32_e32 v8, 31, v7
	v_mov_b32_e32 v4, 0
	v_sub_nc_u32_e32 v6, v25, v24
	v_or_b32_e32 v27, v19, v20
	v_mul_lo_u32 v24, s30, v19
	v_cmp_gt_i32_e64 s11, s17, v19
	v_lshlrev_b64 v[7:8], 3, v[7:8]
	v_mul_lo_u32 v26, s29, v6
	v_ashrrev_i32_e32 v6, 31, v5
	v_or_b32_e32 v28, v27, v21
	v_cmp_lt_i32_e64 s4, -1, v27
	v_cmp_lt_i32_e64 s8, -1, v19
	v_ashrrev_i32_e32 v25, 31, v24
	v_lshlrev_b64 v[5:6], 3, v[5:6]
	v_cmp_lt_i32_e64 s0, -1, v28
	v_ashrrev_i32_e32 v27, 31, v26
	v_mul_lo_u32 v28, s16, v1
	v_lshlrev_b64 v[24:25], 3, v[24:25]
	v_add_co_u32 v5, s1, s44, v5
	v_lshlrev_b64 v[26:27], 3, v[26:27]
	v_add_co_ci_u32_e64 v6, null, s45, v6, s1
	s_and_b32 s2, s0, s11
	v_ashrrev_i32_e32 v29, 31, v28
	v_cmp_lt_i32_e64 s1, -1, v21
	v_add_co_u32 v5, s0, v5, v26
	v_add_co_ci_u32_e64 v6, null, v6, v27, s0
	v_add_co_u32 v24, s0, v5, v24
	v_add_co_ci_u32_e64 v25, null, v6, v25, s0
	v_lshlrev_b64 v[5:6], 3, v[28:29]
	v_add_co_u32 v7, s0, v24, v7
	v_add_co_ci_u32_e64 v8, null, v25, v8, s0
	v_add_co_u32 v5, s0, s48, v5
	v_add_co_ci_u32_e64 v6, null, s49, v6, s0
	;; [unrolled: 2-line block ×3, first 2 shown]
	s_and_b32 s0, s2, s5
	s_and_b32 s2, s0, vcc_lo
	s_and_saveexec_b32 s0, s2
	s_cbranch_execz .LBB0_5
; %bb.4:                                ;   in Loop: Header=BB0_3 Depth=1
	global_load_dwordx2 v[3:4], v[5:6], off
	global_load_dwordx2 v[22:23], v[7:8], off
	s_waitcnt vmcnt(0)
	v_fma_f64 v[3:4], v[3:4], v[22:23], 0
.LBB0_5:                                ;   in Loop: Header=BB0_3 Depth=1
	s_or_b32 exec_lo, exec_lo, s0
	v_cmp_lt_i32_e64 s0, -2, v21
	v_add_nc_u32_e32 v22, 1, v21
	s_and_b32 s3, s4, s0
	v_cmp_gt_i32_e64 s2, s19, v22
	s_and_b32 s3, s3, s11
	s_and_b32 s3, s3, s5
	;; [unrolled: 1-line block ×3, first 2 shown]
	s_and_saveexec_b32 s3, s7
	s_cbranch_execz .LBB0_7
; %bb.6:                                ;   in Loop: Header=BB0_3 Depth=1
	global_load_dwordx2 v[22:23], v[5:6], off offset:8
	global_load_dwordx2 v[24:25], v[7:8], off offset:8
	s_waitcnt vmcnt(0)
	v_fma_f64 v[3:4], v[22:23], v[24:25], v[3:4]
.LBB0_7:                                ;   in Loop: Header=BB0_3 Depth=1
	s_or_b32 exec_lo, exec_lo, s3
	v_cmp_lt_i32_e64 s3, -3, v21
	v_add_nc_u32_e32 v21, 2, v21
	s_and_b32 s7, s4, s3
	v_cmp_gt_i32_e64 s4, s19, v21
	s_and_b32 s7, s7, s11
	s_and_b32 s7, s7, s5
	;; [unrolled: 1-line block ×3, first 2 shown]
	s_and_saveexec_b32 s7, s9
	s_cbranch_execz .LBB0_9
; %bb.8:                                ;   in Loop: Header=BB0_3 Depth=1
	global_load_dwordx2 v[21:22], v[5:6], off offset:16
	global_load_dwordx2 v[23:24], v[7:8], off offset:16
	s_waitcnt vmcnt(0)
	v_fma_f64 v[3:4], v[21:22], v[23:24], v[3:4]
.LBB0_9:                                ;   in Loop: Header=BB0_3 Depth=1
	s_or_b32 exec_lo, exec_lo, s7
	v_cmp_lt_i32_e64 s9, -2, v20
	v_add_nc_u32_e32 v21, 1, v20
	s_and_b32 s12, s8, s9
	v_cmp_gt_i32_e64 s7, s18, v21
	s_and_b32 s10, s12, s1
	s_and_b32 s13, s10, s11
	v_add_co_u32 v7, s10, v7, s50
	v_add_co_ci_u32_e64 v8, null, s51, v8, s10
	s_and_b32 s10, s13, s7
	s_and_b32 s13, s10, vcc_lo
	s_and_saveexec_b32 s10, s13
	s_cbranch_execz .LBB0_11
; %bb.10:                               ;   in Loop: Header=BB0_3 Depth=1
	global_load_dwordx2 v[21:22], v[5:6], off offset:24
	global_load_dwordx2 v[23:24], v[7:8], off
	s_waitcnt vmcnt(0)
	v_fma_f64 v[3:4], v[21:22], v[23:24], v[3:4]
.LBB0_11:                               ;   in Loop: Header=BB0_3 Depth=1
	s_or_b32 exec_lo, exec_lo, s10
	s_and_b32 s10, s12, s0
	s_and_b32 s10, s10, s11
	;; [unrolled: 1-line block ×4, first 2 shown]
	s_and_saveexec_b32 s10, s13
	s_cbranch_execz .LBB0_13
; %bb.12:                               ;   in Loop: Header=BB0_3 Depth=1
	global_load_dwordx2 v[21:22], v[5:6], off offset:32
	global_load_dwordx2 v[23:24], v[7:8], off offset:8
	s_waitcnt vmcnt(0)
	v_fma_f64 v[3:4], v[21:22], v[23:24], v[3:4]
.LBB0_13:                               ;   in Loop: Header=BB0_3 Depth=1
	s_or_b32 exec_lo, exec_lo, s10
	s_and_b32 s10, s12, s3
	s_and_b32 s10, s10, s11
	s_and_b32 s10, s10, s7
	s_and_b32 s12, s10, s4
	s_and_saveexec_b32 s10, s12
	s_cbranch_execz .LBB0_15
; %bb.14:                               ;   in Loop: Header=BB0_3 Depth=1
	global_load_dwordx2 v[21:22], v[5:6], off offset:40
	global_load_dwordx2 v[23:24], v[7:8], off offset:16
	s_waitcnt vmcnt(0)
	v_fma_f64 v[3:4], v[21:22], v[23:24], v[3:4]
.LBB0_15:                               ;   in Loop: Header=BB0_3 Depth=1
	s_or_b32 exec_lo, exec_lo, s10
	v_cmp_lt_i32_e64 s10, -3, v20
	v_add_nc_u32_e32 v20, 2, v20
	s_and_b32 s13, s8, s10
	v_cmp_gt_i32_e64 s8, s18, v20
	s_and_b32 s12, s13, s1
	s_and_b32 s68, s12, s11
	v_add_co_u32 v7, s12, v7, s50
	v_add_co_ci_u32_e64 v8, null, s51, v8, s12
	s_and_b32 s12, s68, s8
	s_and_b32 s68, s12, vcc_lo
	s_and_saveexec_b32 s12, s68
	s_cbranch_execz .LBB0_17
; %bb.16:                               ;   in Loop: Header=BB0_3 Depth=1
	global_load_dwordx2 v[20:21], v[5:6], off offset:48
	global_load_dwordx2 v[22:23], v[7:8], off
	s_waitcnt vmcnt(0)
	v_fma_f64 v[3:4], v[20:21], v[22:23], v[3:4]
.LBB0_17:                               ;   in Loop: Header=BB0_3 Depth=1
	s_or_b32 exec_lo, exec_lo, s12
	s_and_b32 s12, s13, s0
	s_and_b32 s12, s12, s11
	;; [unrolled: 1-line block ×4, first 2 shown]
	s_and_saveexec_b32 s12, s68
	s_cbranch_execz .LBB0_19
; %bb.18:                               ;   in Loop: Header=BB0_3 Depth=1
	global_load_dwordx2 v[20:21], v[5:6], off offset:56
	global_load_dwordx2 v[22:23], v[7:8], off offset:8
	s_waitcnt vmcnt(0)
	v_fma_f64 v[3:4], v[20:21], v[22:23], v[3:4]
.LBB0_19:                               ;   in Loop: Header=BB0_3 Depth=1
	s_or_b32 exec_lo, exec_lo, s12
	s_and_b32 s12, s13, s3
	s_and_b32 s11, s12, s11
	;; [unrolled: 1-line block ×4, first 2 shown]
	s_and_saveexec_b32 s11, s12
	s_cbranch_execz .LBB0_21
; %bb.20:                               ;   in Loop: Header=BB0_3 Depth=1
	global_load_dwordx2 v[20:21], v[5:6], off offset:64
	global_load_dwordx2 v[22:23], v[7:8], off offset:16
	s_waitcnt vmcnt(0)
	v_fma_f64 v[3:4], v[20:21], v[22:23], v[3:4]
.LBB0_21:                               ;   in Loop: Header=BB0_3 Depth=1
	s_or_b32 exec_lo, exec_lo, s11
	v_add_nc_u32_e32 v20, 1, v19
	v_cmp_lt_i32_e64 s12, -2, v19
	v_add_co_u32 v7, s13, v7, s50
	v_add_co_ci_u32_e64 v8, null, s51, v8, s13
	v_cmp_gt_i32_e64 s11, s17, v20
	s_and_b32 s68, s12, s6
	v_add_co_u32 v7, s13, v7, s52
	s_and_b32 s69, s68, s1
	v_add_co_ci_u32_e64 v8, null, s53, v8, s13
	s_and_b32 s69, s69, s11
	s_and_b32 s13, s69, s5
	s_and_b32 s69, s13, vcc_lo
	s_and_saveexec_b32 s13, s69
	s_cbranch_execz .LBB0_23
; %bb.22:                               ;   in Loop: Header=BB0_3 Depth=1
	global_load_dwordx2 v[20:21], v[5:6], off offset:72
	global_load_dwordx2 v[22:23], v[7:8], off
	s_waitcnt vmcnt(0)
	v_fma_f64 v[3:4], v[20:21], v[22:23], v[3:4]
.LBB0_23:                               ;   in Loop: Header=BB0_3 Depth=1
	s_or_b32 exec_lo, exec_lo, s13
	s_and_b32 s13, s68, s0
	s_and_b32 s13, s13, s11
	;; [unrolled: 1-line block ×4, first 2 shown]
	s_and_saveexec_b32 s13, s69
	s_cbranch_execz .LBB0_25
; %bb.24:                               ;   in Loop: Header=BB0_3 Depth=1
	global_load_dwordx2 v[20:21], v[5:6], off offset:80
	global_load_dwordx2 v[22:23], v[7:8], off offset:8
	s_waitcnt vmcnt(0)
	v_fma_f64 v[3:4], v[20:21], v[22:23], v[3:4]
.LBB0_25:                               ;   in Loop: Header=BB0_3 Depth=1
	s_or_b32 exec_lo, exec_lo, s13
	s_and_b32 s13, s68, s3
	s_and_b32 s13, s13, s11
	;; [unrolled: 1-line block ×4, first 2 shown]
	s_and_saveexec_b32 s13, s68
	s_cbranch_execz .LBB0_27
; %bb.26:                               ;   in Loop: Header=BB0_3 Depth=1
	global_load_dwordx2 v[20:21], v[5:6], off offset:88
	global_load_dwordx2 v[22:23], v[7:8], off offset:16
	s_waitcnt vmcnt(0)
	v_fma_f64 v[3:4], v[20:21], v[22:23], v[3:4]
.LBB0_27:                               ;   in Loop: Header=BB0_3 Depth=1
	s_or_b32 exec_lo, exec_lo, s13
	s_and_b32 s68, s12, s9
	s_and_b32 s13, s68, s1
	;; [unrolled: 1-line block ×3, first 2 shown]
	v_add_co_u32 v7, s13, v7, s50
	v_add_co_ci_u32_e64 v8, null, s51, v8, s13
	s_and_b32 s13, s69, s7
	s_and_b32 s69, s13, vcc_lo
	s_and_saveexec_b32 s13, s69
	s_cbranch_execz .LBB0_29
; %bb.28:                               ;   in Loop: Header=BB0_3 Depth=1
	global_load_dwordx2 v[20:21], v[5:6], off offset:96
	global_load_dwordx2 v[22:23], v[7:8], off
	s_waitcnt vmcnt(0)
	v_fma_f64 v[3:4], v[20:21], v[22:23], v[3:4]
.LBB0_29:                               ;   in Loop: Header=BB0_3 Depth=1
	s_or_b32 exec_lo, exec_lo, s13
	s_and_b32 s13, s68, s0
	s_and_b32 s13, s13, s11
	;; [unrolled: 1-line block ×4, first 2 shown]
	s_and_saveexec_b32 s13, s69
	s_cbranch_execz .LBB0_31
; %bb.30:                               ;   in Loop: Header=BB0_3 Depth=1
	global_load_dwordx2 v[20:21], v[5:6], off offset:104
	global_load_dwordx2 v[22:23], v[7:8], off offset:8
	s_waitcnt vmcnt(0)
	v_fma_f64 v[3:4], v[20:21], v[22:23], v[3:4]
.LBB0_31:                               ;   in Loop: Header=BB0_3 Depth=1
	s_or_b32 exec_lo, exec_lo, s13
	s_and_b32 s13, s68, s3
	s_and_b32 s13, s13, s11
	;; [unrolled: 1-line block ×4, first 2 shown]
	s_and_saveexec_b32 s13, s68
	s_cbranch_execz .LBB0_33
; %bb.32:                               ;   in Loop: Header=BB0_3 Depth=1
	global_load_dwordx2 v[20:21], v[5:6], off offset:112
	global_load_dwordx2 v[22:23], v[7:8], off offset:16
	s_waitcnt vmcnt(0)
	v_fma_f64 v[3:4], v[20:21], v[22:23], v[3:4]
.LBB0_33:                               ;   in Loop: Header=BB0_3 Depth=1
	s_or_b32 exec_lo, exec_lo, s13
	s_and_b32 s13, s12, s10
	s_and_b32 s12, s13, s1
	;; [unrolled: 1-line block ×3, first 2 shown]
	v_add_co_u32 v7, s12, v7, s50
	v_add_co_ci_u32_e64 v8, null, s51, v8, s12
	s_and_b32 s12, s68, s8
	s_and_b32 s68, s12, vcc_lo
	s_and_saveexec_b32 s12, s68
	s_cbranch_execz .LBB0_35
; %bb.34:                               ;   in Loop: Header=BB0_3 Depth=1
	global_load_dwordx2 v[20:21], v[5:6], off offset:120
	global_load_dwordx2 v[22:23], v[7:8], off
	s_waitcnt vmcnt(0)
	v_fma_f64 v[3:4], v[20:21], v[22:23], v[3:4]
.LBB0_35:                               ;   in Loop: Header=BB0_3 Depth=1
	s_or_b32 exec_lo, exec_lo, s12
	s_and_b32 s12, s13, s0
	s_and_b32 s12, s12, s11
	;; [unrolled: 1-line block ×4, first 2 shown]
	s_and_saveexec_b32 s12, s68
	s_cbranch_execz .LBB0_37
; %bb.36:                               ;   in Loop: Header=BB0_3 Depth=1
	global_load_dwordx2 v[20:21], v[5:6], off offset:128
	global_load_dwordx2 v[22:23], v[7:8], off offset:8
	s_waitcnt vmcnt(0)
	v_fma_f64 v[3:4], v[20:21], v[22:23], v[3:4]
.LBB0_37:                               ;   in Loop: Header=BB0_3 Depth=1
	s_or_b32 exec_lo, exec_lo, s12
	s_and_b32 s12, s13, s3
	s_and_b32 s11, s12, s11
	;; [unrolled: 1-line block ×4, first 2 shown]
	s_and_saveexec_b32 s11, s12
	s_cbranch_execz .LBB0_39
; %bb.38:                               ;   in Loop: Header=BB0_3 Depth=1
	global_load_dwordx2 v[20:21], v[5:6], off offset:136
	global_load_dwordx2 v[22:23], v[7:8], off offset:16
	s_waitcnt vmcnt(0)
	v_fma_f64 v[3:4], v[20:21], v[22:23], v[3:4]
.LBB0_39:                               ;   in Loop: Header=BB0_3 Depth=1
	s_or_b32 exec_lo, exec_lo, s11
	v_cmp_lt_i32_e64 s11, -3, v19
	v_add_nc_u32_e32 v19, 2, v19
	v_add_co_u32 v7, s12, v7, s50
	v_add_co_ci_u32_e64 v8, null, s51, v8, s12
	s_and_b32 s13, s11, s6
	v_cmp_gt_i32_e64 s6, s17, v19
	s_and_b32 s68, s13, s1
	v_add_co_u32 v7, s12, v7, s52
	v_add_co_ci_u32_e64 v8, null, s53, v8, s12
	s_and_b32 s68, s68, s6
	s_and_b32 s12, s68, s5
	s_and_b32 s68, s12, vcc_lo
	s_and_saveexec_b32 s12, s68
	s_cbranch_execz .LBB0_41
; %bb.40:                               ;   in Loop: Header=BB0_3 Depth=1
	global_load_dwordx2 v[19:20], v[5:6], off offset:144
	global_load_dwordx2 v[21:22], v[7:8], off
	s_waitcnt vmcnt(0)
	v_fma_f64 v[3:4], v[19:20], v[21:22], v[3:4]
.LBB0_41:                               ;   in Loop: Header=BB0_3 Depth=1
	s_or_b32 exec_lo, exec_lo, s12
	s_and_b32 s12, s13, s0
	s_and_b32 s12, s12, s6
	;; [unrolled: 1-line block ×4, first 2 shown]
	s_and_saveexec_b32 s12, s68
	s_cbranch_execz .LBB0_43
; %bb.42:                               ;   in Loop: Header=BB0_3 Depth=1
	global_load_dwordx2 v[19:20], v[5:6], off offset:152
	global_load_dwordx2 v[21:22], v[7:8], off offset:8
	s_waitcnt vmcnt(0)
	v_fma_f64 v[3:4], v[19:20], v[21:22], v[3:4]
.LBB0_43:                               ;   in Loop: Header=BB0_3 Depth=1
	s_or_b32 exec_lo, exec_lo, s12
	s_and_b32 s12, s13, s3
	s_and_b32 s12, s12, s6
	;; [unrolled: 1-line block ×4, first 2 shown]
	s_and_saveexec_b32 s5, s12
	s_cbranch_execz .LBB0_45
; %bb.44:                               ;   in Loop: Header=BB0_3 Depth=1
	global_load_dwordx2 v[19:20], v[5:6], off offset:160
	global_load_dwordx2 v[21:22], v[7:8], off offset:16
	s_waitcnt vmcnt(0)
	v_fma_f64 v[3:4], v[19:20], v[21:22], v[3:4]
.LBB0_45:                               ;   in Loop: Header=BB0_3 Depth=1
	s_or_b32 exec_lo, exec_lo, s5
	s_and_b32 s9, s11, s9
	s_and_b32 s5, s9, s1
	;; [unrolled: 1-line block ×3, first 2 shown]
	v_add_co_u32 v7, s5, v7, s50
	v_add_co_ci_u32_e64 v8, null, s51, v8, s5
	s_and_b32 s5, s12, s7
	s_and_b32 s12, s5, vcc_lo
	s_and_saveexec_b32 s5, s12
	s_cbranch_execz .LBB0_47
; %bb.46:                               ;   in Loop: Header=BB0_3 Depth=1
	global_load_dwordx2 v[19:20], v[5:6], off offset:168
	global_load_dwordx2 v[21:22], v[7:8], off
	s_waitcnt vmcnt(0)
	v_fma_f64 v[3:4], v[19:20], v[21:22], v[3:4]
.LBB0_47:                               ;   in Loop: Header=BB0_3 Depth=1
	s_or_b32 exec_lo, exec_lo, s5
	s_and_b32 s5, s9, s0
	s_and_b32 s5, s5, s6
	;; [unrolled: 1-line block ×4, first 2 shown]
	s_and_saveexec_b32 s5, s12
	s_cbranch_execz .LBB0_49
; %bb.48:                               ;   in Loop: Header=BB0_3 Depth=1
	global_load_dwordx2 v[19:20], v[5:6], off offset:176
	global_load_dwordx2 v[21:22], v[7:8], off offset:8
	s_waitcnt vmcnt(0)
	v_fma_f64 v[3:4], v[19:20], v[21:22], v[3:4]
.LBB0_49:                               ;   in Loop: Header=BB0_3 Depth=1
	s_or_b32 exec_lo, exec_lo, s5
	s_and_b32 s5, s9, s3
	s_and_b32 s5, s5, s6
	;; [unrolled: 1-line block ×4, first 2 shown]
	s_and_saveexec_b32 s5, s7
	s_cbranch_execz .LBB0_51
; %bb.50:                               ;   in Loop: Header=BB0_3 Depth=1
	global_load_dwordx2 v[19:20], v[5:6], off offset:184
	global_load_dwordx2 v[21:22], v[7:8], off offset:16
	s_waitcnt vmcnt(0)
	v_fma_f64 v[3:4], v[19:20], v[21:22], v[3:4]
.LBB0_51:                               ;   in Loop: Header=BB0_3 Depth=1
	s_or_b32 exec_lo, exec_lo, s5
	s_and_b32 s5, s11, s10
	s_and_b32 s1, s5, s1
	;; [unrolled: 1-line block ×3, first 2 shown]
	v_add_co_u32 v7, s1, v7, s50
	v_add_co_ci_u32_e64 v8, null, s51, v8, s1
	s_and_b32 s1, s7, s8
	s_and_b32 s7, s1, vcc_lo
	s_and_saveexec_b32 s1, s7
	s_cbranch_execz .LBB0_53
; %bb.52:                               ;   in Loop: Header=BB0_3 Depth=1
	global_load_dwordx2 v[19:20], v[5:6], off offset:192
	global_load_dwordx2 v[21:22], v[7:8], off
	s_waitcnt vmcnt(0)
	v_fma_f64 v[3:4], v[19:20], v[21:22], v[3:4]
.LBB0_53:                               ;   in Loop: Header=BB0_3 Depth=1
	s_or_b32 exec_lo, exec_lo, s1
	s_and_b32 s0, s5, s0
	s_and_b32 s0, s0, s6
	;; [unrolled: 1-line block ×4, first 2 shown]
	s_and_saveexec_b32 s0, s1
	s_cbranch_execz .LBB0_55
; %bb.54:                               ;   in Loop: Header=BB0_3 Depth=1
	global_load_dwordx2 v[19:20], v[5:6], off offset:200
	global_load_dwordx2 v[21:22], v[7:8], off offset:8
	s_waitcnt vmcnt(0)
	v_fma_f64 v[3:4], v[19:20], v[21:22], v[3:4]
.LBB0_55:                               ;   in Loop: Header=BB0_3 Depth=1
	s_or_b32 exec_lo, exec_lo, s0
	s_and_b32 s0, s5, s3
	s_and_b32 s0, s0, s6
	;; [unrolled: 1-line block ×4, first 2 shown]
	s_and_saveexec_b32 s0, s1
	s_cbranch_execz .LBB0_57
; %bb.56:                               ;   in Loop: Header=BB0_3 Depth=1
	global_load_dwordx2 v[5:6], v[5:6], off offset:208
	global_load_dwordx2 v[7:8], v[7:8], off offset:16
	s_waitcnt vmcnt(0)
	v_fma_f64 v[3:4], v[5:6], v[7:8], v[3:4]
.LBB0_57:                               ;   in Loop: Header=BB0_3 Depth=1
	s_or_b32 exec_lo, exec_lo, s0
	s_andn2_b32 vcc_lo, exec_lo, s56
	s_cbranch_vccnz .LBB0_2
; %bb.58:                               ;   in Loop: Header=BB0_3 Depth=1
	v_lshlrev_b64 v[5:6], 3, v[1:2]
	v_add_co_u32 v5, vcc_lo, s40, v5
	v_add_co_ci_u32_e64 v6, null, s41, v6, vcc_lo
	global_load_dwordx2 v[5:6], v[5:6], off
	s_waitcnt vmcnt(0)
	v_add_f64 v[3:4], v[3:4], v[5:6]
	s_branch .LBB0_2
.LBB0_59:
	s_endpgm
	.section	.rodata,"a",@progbits
	.p2align	6, 0x0
	.amdhsa_kernel _ZN2at6native12_GLOBAL__N_128conv_depthwise3d_cuda_kernelIddLi3ELi3ELi3ELi1ELi1ELi1EEEvN5torch10headeronly6detail27GenericPackedTensorAccessorINS5_14TensorAccessorIN3c108ArrayRefIlEEKT_Lm4ENS4_16DefaultPtrTraitsEiEENS_6detail16IndexBoundsCheckILm5EiEESC_Lm5ESD_iEENS6_INS7_ISA_SB_Lm4ESD_iEESH_SB_Lm5ESD_iEESI_PSC_iiiiiiiii
		.amdhsa_group_segment_fixed_size 0
		.amdhsa_private_segment_fixed_size 0
		.amdhsa_kernarg_size 448
		.amdhsa_user_sgpr_count 6
		.amdhsa_user_sgpr_private_segment_buffer 1
		.amdhsa_user_sgpr_dispatch_ptr 0
		.amdhsa_user_sgpr_queue_ptr 0
		.amdhsa_user_sgpr_kernarg_segment_ptr 1
		.amdhsa_user_sgpr_dispatch_id 0
		.amdhsa_user_sgpr_flat_scratch_init 0
		.amdhsa_user_sgpr_private_segment_size 0
		.amdhsa_wavefront_size32 1
		.amdhsa_uses_dynamic_stack 0
		.amdhsa_system_sgpr_private_segment_wavefront_offset 0
		.amdhsa_system_sgpr_workgroup_id_x 1
		.amdhsa_system_sgpr_workgroup_id_y 0
		.amdhsa_system_sgpr_workgroup_id_z 0
		.amdhsa_system_sgpr_workgroup_info 0
		.amdhsa_system_vgpr_workitem_id 0
		.amdhsa_next_free_vgpr 30
		.amdhsa_next_free_sgpr 70
		.amdhsa_reserve_vcc 1
		.amdhsa_reserve_flat_scratch 0
		.amdhsa_float_round_mode_32 0
		.amdhsa_float_round_mode_16_64 0
		.amdhsa_float_denorm_mode_32 3
		.amdhsa_float_denorm_mode_16_64 3
		.amdhsa_dx10_clamp 1
		.amdhsa_ieee_mode 1
		.amdhsa_fp16_overflow 0
		.amdhsa_workgroup_processor_mode 1
		.amdhsa_memory_ordered 1
		.amdhsa_forward_progress 1
		.amdhsa_shared_vgpr_count 0
		.amdhsa_exception_fp_ieee_invalid_op 0
		.amdhsa_exception_fp_denorm_src 0
		.amdhsa_exception_fp_ieee_div_zero 0
		.amdhsa_exception_fp_ieee_overflow 0
		.amdhsa_exception_fp_ieee_underflow 0
		.amdhsa_exception_fp_ieee_inexact 0
		.amdhsa_exception_int_div_zero 0
	.end_amdhsa_kernel
	.section	.text._ZN2at6native12_GLOBAL__N_128conv_depthwise3d_cuda_kernelIddLi3ELi3ELi3ELi1ELi1ELi1EEEvN5torch10headeronly6detail27GenericPackedTensorAccessorINS5_14TensorAccessorIN3c108ArrayRefIlEEKT_Lm4ENS4_16DefaultPtrTraitsEiEENS_6detail16IndexBoundsCheckILm5EiEESC_Lm5ESD_iEENS6_INS7_ISA_SB_Lm4ESD_iEESH_SB_Lm5ESD_iEESI_PSC_iiiiiiiii,"axG",@progbits,_ZN2at6native12_GLOBAL__N_128conv_depthwise3d_cuda_kernelIddLi3ELi3ELi3ELi1ELi1ELi1EEEvN5torch10headeronly6detail27GenericPackedTensorAccessorINS5_14TensorAccessorIN3c108ArrayRefIlEEKT_Lm4ENS4_16DefaultPtrTraitsEiEENS_6detail16IndexBoundsCheckILm5EiEESC_Lm5ESD_iEENS6_INS7_ISA_SB_Lm4ESD_iEESH_SB_Lm5ESD_iEESI_PSC_iiiiiiiii,comdat
.Lfunc_end0:
	.size	_ZN2at6native12_GLOBAL__N_128conv_depthwise3d_cuda_kernelIddLi3ELi3ELi3ELi1ELi1ELi1EEEvN5torch10headeronly6detail27GenericPackedTensorAccessorINS5_14TensorAccessorIN3c108ArrayRefIlEEKT_Lm4ENS4_16DefaultPtrTraitsEiEENS_6detail16IndexBoundsCheckILm5EiEESC_Lm5ESD_iEENS6_INS7_ISA_SB_Lm4ESD_iEESH_SB_Lm5ESD_iEESI_PSC_iiiiiiiii, .Lfunc_end0-_ZN2at6native12_GLOBAL__N_128conv_depthwise3d_cuda_kernelIddLi3ELi3ELi3ELi1ELi1ELi1EEEvN5torch10headeronly6detail27GenericPackedTensorAccessorINS5_14TensorAccessorIN3c108ArrayRefIlEEKT_Lm4ENS4_16DefaultPtrTraitsEiEENS_6detail16IndexBoundsCheckILm5EiEESC_Lm5ESD_iEENS6_INS7_ISA_SB_Lm4ESD_iEESH_SB_Lm5ESD_iEESI_PSC_iiiiiiiii
                                        ; -- End function
	.set _ZN2at6native12_GLOBAL__N_128conv_depthwise3d_cuda_kernelIddLi3ELi3ELi3ELi1ELi1ELi1EEEvN5torch10headeronly6detail27GenericPackedTensorAccessorINS5_14TensorAccessorIN3c108ArrayRefIlEEKT_Lm4ENS4_16DefaultPtrTraitsEiEENS_6detail16IndexBoundsCheckILm5EiEESC_Lm5ESD_iEENS6_INS7_ISA_SB_Lm4ESD_iEESH_SB_Lm5ESD_iEESI_PSC_iiiiiiiii.num_vgpr, 30
	.set _ZN2at6native12_GLOBAL__N_128conv_depthwise3d_cuda_kernelIddLi3ELi3ELi3ELi1ELi1ELi1EEEvN5torch10headeronly6detail27GenericPackedTensorAccessorINS5_14TensorAccessorIN3c108ArrayRefIlEEKT_Lm4ENS4_16DefaultPtrTraitsEiEENS_6detail16IndexBoundsCheckILm5EiEESC_Lm5ESD_iEENS6_INS7_ISA_SB_Lm4ESD_iEESH_SB_Lm5ESD_iEESI_PSC_iiiiiiiii.num_agpr, 0
	.set _ZN2at6native12_GLOBAL__N_128conv_depthwise3d_cuda_kernelIddLi3ELi3ELi3ELi1ELi1ELi1EEEvN5torch10headeronly6detail27GenericPackedTensorAccessorINS5_14TensorAccessorIN3c108ArrayRefIlEEKT_Lm4ENS4_16DefaultPtrTraitsEiEENS_6detail16IndexBoundsCheckILm5EiEESC_Lm5ESD_iEENS6_INS7_ISA_SB_Lm4ESD_iEESH_SB_Lm5ESD_iEESI_PSC_iiiiiiiii.numbered_sgpr, 70
	.set _ZN2at6native12_GLOBAL__N_128conv_depthwise3d_cuda_kernelIddLi3ELi3ELi3ELi1ELi1ELi1EEEvN5torch10headeronly6detail27GenericPackedTensorAccessorINS5_14TensorAccessorIN3c108ArrayRefIlEEKT_Lm4ENS4_16DefaultPtrTraitsEiEENS_6detail16IndexBoundsCheckILm5EiEESC_Lm5ESD_iEENS6_INS7_ISA_SB_Lm4ESD_iEESH_SB_Lm5ESD_iEESI_PSC_iiiiiiiii.num_named_barrier, 0
	.set _ZN2at6native12_GLOBAL__N_128conv_depthwise3d_cuda_kernelIddLi3ELi3ELi3ELi1ELi1ELi1EEEvN5torch10headeronly6detail27GenericPackedTensorAccessorINS5_14TensorAccessorIN3c108ArrayRefIlEEKT_Lm4ENS4_16DefaultPtrTraitsEiEENS_6detail16IndexBoundsCheckILm5EiEESC_Lm5ESD_iEENS6_INS7_ISA_SB_Lm4ESD_iEESH_SB_Lm5ESD_iEESI_PSC_iiiiiiiii.private_seg_size, 0
	.set _ZN2at6native12_GLOBAL__N_128conv_depthwise3d_cuda_kernelIddLi3ELi3ELi3ELi1ELi1ELi1EEEvN5torch10headeronly6detail27GenericPackedTensorAccessorINS5_14TensorAccessorIN3c108ArrayRefIlEEKT_Lm4ENS4_16DefaultPtrTraitsEiEENS_6detail16IndexBoundsCheckILm5EiEESC_Lm5ESD_iEENS6_INS7_ISA_SB_Lm4ESD_iEESH_SB_Lm5ESD_iEESI_PSC_iiiiiiiii.uses_vcc, 1
	.set _ZN2at6native12_GLOBAL__N_128conv_depthwise3d_cuda_kernelIddLi3ELi3ELi3ELi1ELi1ELi1EEEvN5torch10headeronly6detail27GenericPackedTensorAccessorINS5_14TensorAccessorIN3c108ArrayRefIlEEKT_Lm4ENS4_16DefaultPtrTraitsEiEENS_6detail16IndexBoundsCheckILm5EiEESC_Lm5ESD_iEENS6_INS7_ISA_SB_Lm4ESD_iEESH_SB_Lm5ESD_iEESI_PSC_iiiiiiiii.uses_flat_scratch, 0
	.set _ZN2at6native12_GLOBAL__N_128conv_depthwise3d_cuda_kernelIddLi3ELi3ELi3ELi1ELi1ELi1EEEvN5torch10headeronly6detail27GenericPackedTensorAccessorINS5_14TensorAccessorIN3c108ArrayRefIlEEKT_Lm4ENS4_16DefaultPtrTraitsEiEENS_6detail16IndexBoundsCheckILm5EiEESC_Lm5ESD_iEENS6_INS7_ISA_SB_Lm4ESD_iEESH_SB_Lm5ESD_iEESI_PSC_iiiiiiiii.has_dyn_sized_stack, 0
	.set _ZN2at6native12_GLOBAL__N_128conv_depthwise3d_cuda_kernelIddLi3ELi3ELi3ELi1ELi1ELi1EEEvN5torch10headeronly6detail27GenericPackedTensorAccessorINS5_14TensorAccessorIN3c108ArrayRefIlEEKT_Lm4ENS4_16DefaultPtrTraitsEiEENS_6detail16IndexBoundsCheckILm5EiEESC_Lm5ESD_iEENS6_INS7_ISA_SB_Lm4ESD_iEESH_SB_Lm5ESD_iEESI_PSC_iiiiiiiii.has_recursion, 0
	.set _ZN2at6native12_GLOBAL__N_128conv_depthwise3d_cuda_kernelIddLi3ELi3ELi3ELi1ELi1ELi1EEEvN5torch10headeronly6detail27GenericPackedTensorAccessorINS5_14TensorAccessorIN3c108ArrayRefIlEEKT_Lm4ENS4_16DefaultPtrTraitsEiEENS_6detail16IndexBoundsCheckILm5EiEESC_Lm5ESD_iEENS6_INS7_ISA_SB_Lm4ESD_iEESH_SB_Lm5ESD_iEESI_PSC_iiiiiiiii.has_indirect_call, 0
	.section	.AMDGPU.csdata,"",@progbits
; Kernel info:
; codeLenInByte = 3512
; TotalNumSgprs: 72
; NumVgprs: 30
; ScratchSize: 0
; MemoryBound: 1
; FloatMode: 240
; IeeeMode: 1
; LDSByteSize: 0 bytes/workgroup (compile time only)
; SGPRBlocks: 0
; VGPRBlocks: 3
; NumSGPRsForWavesPerEU: 72
; NumVGPRsForWavesPerEU: 30
; Occupancy: 16
; WaveLimiterHint : 0
; COMPUTE_PGM_RSRC2:SCRATCH_EN: 0
; COMPUTE_PGM_RSRC2:USER_SGPR: 6
; COMPUTE_PGM_RSRC2:TRAP_HANDLER: 0
; COMPUTE_PGM_RSRC2:TGID_X_EN: 1
; COMPUTE_PGM_RSRC2:TGID_Y_EN: 0
; COMPUTE_PGM_RSRC2:TGID_Z_EN: 0
; COMPUTE_PGM_RSRC2:TIDIG_COMP_CNT: 0
	.section	.text._ZN2at6native12_GLOBAL__N_128conv_depthwise3d_cuda_kernelIddLin1ELin1ELin1ELi1ELi1ELi1EEEvN5torch10headeronly6detail27GenericPackedTensorAccessorINS5_14TensorAccessorIN3c108ArrayRefIlEEKT_Lm4ENS4_16DefaultPtrTraitsEiEENS_6detail16IndexBoundsCheckILm5EiEESC_Lm5ESD_iEENS6_INS7_ISA_SB_Lm4ESD_iEESH_SB_Lm5ESD_iEESI_PSC_iiiiiiiii,"axG",@progbits,_ZN2at6native12_GLOBAL__N_128conv_depthwise3d_cuda_kernelIddLin1ELin1ELin1ELi1ELi1ELi1EEEvN5torch10headeronly6detail27GenericPackedTensorAccessorINS5_14TensorAccessorIN3c108ArrayRefIlEEKT_Lm4ENS4_16DefaultPtrTraitsEiEENS_6detail16IndexBoundsCheckILm5EiEESC_Lm5ESD_iEENS6_INS7_ISA_SB_Lm4ESD_iEESH_SB_Lm5ESD_iEESI_PSC_iiiiiiiii,comdat
	.globl	_ZN2at6native12_GLOBAL__N_128conv_depthwise3d_cuda_kernelIddLin1ELin1ELin1ELi1ELi1ELi1EEEvN5torch10headeronly6detail27GenericPackedTensorAccessorINS5_14TensorAccessorIN3c108ArrayRefIlEEKT_Lm4ENS4_16DefaultPtrTraitsEiEENS_6detail16IndexBoundsCheckILm5EiEESC_Lm5ESD_iEENS6_INS7_ISA_SB_Lm4ESD_iEESH_SB_Lm5ESD_iEESI_PSC_iiiiiiiii ; -- Begin function _ZN2at6native12_GLOBAL__N_128conv_depthwise3d_cuda_kernelIddLin1ELin1ELin1ELi1ELi1ELi1EEEvN5torch10headeronly6detail27GenericPackedTensorAccessorINS5_14TensorAccessorIN3c108ArrayRefIlEEKT_Lm4ENS4_16DefaultPtrTraitsEiEENS_6detail16IndexBoundsCheckILm5EiEESC_Lm5ESD_iEENS6_INS7_ISA_SB_Lm4ESD_iEESH_SB_Lm5ESD_iEESI_PSC_iiiiiiiii
	.p2align	8
	.type	_ZN2at6native12_GLOBAL__N_128conv_depthwise3d_cuda_kernelIddLin1ELin1ELin1ELi1ELi1ELi1EEEvN5torch10headeronly6detail27GenericPackedTensorAccessorINS5_14TensorAccessorIN3c108ArrayRefIlEEKT_Lm4ENS4_16DefaultPtrTraitsEiEENS_6detail16IndexBoundsCheckILm5EiEESC_Lm5ESD_iEENS6_INS7_ISA_SB_Lm4ESD_iEESH_SB_Lm5ESD_iEESI_PSC_iiiiiiiii,@function
_ZN2at6native12_GLOBAL__N_128conv_depthwise3d_cuda_kernelIddLin1ELin1ELin1ELi1ELi1ELi1EEEvN5torch10headeronly6detail27GenericPackedTensorAccessorINS5_14TensorAccessorIN3c108ArrayRefIlEEKT_Lm4ENS4_16DefaultPtrTraitsEiEENS_6detail16IndexBoundsCheckILm5EiEESC_Lm5ESD_iEENS6_INS7_ISA_SB_Lm4ESD_iEESH_SB_Lm5ESD_iEESI_PSC_iiiiiiiii: ; @_ZN2at6native12_GLOBAL__N_128conv_depthwise3d_cuda_kernelIddLin1ELin1ELin1ELi1ELi1ELi1EEEvN5torch10headeronly6detail27GenericPackedTensorAccessorINS5_14TensorAccessorIN3c108ArrayRefIlEEKT_Lm4ENS4_16DefaultPtrTraitsEiEENS_6detail16IndexBoundsCheckILm5EiEESC_Lm5ESD_iEENS6_INS7_ISA_SB_Lm4ESD_iEESH_SB_Lm5ESD_iEESI_PSC_iiiiiiiii
; %bb.0:
	s_clause 0x3
	s_load_dwordx4 s[8:11], s[4:5], 0xc
	s_load_dword s3, s[4:5], 0xcc
	s_load_dwordx4 s[12:15], s[4:5], 0x38
	s_load_dwordx2 s[28:29], s[4:5], 0x48
	s_waitcnt lgkmcnt(0)
	s_abs_i32 s2, s8
	s_add_u32 s0, s4, 0xc0
	v_cvt_f32_u32_e32 v1, s2
	s_addc_u32 s1, s5, 0
	s_and_b32 s44, s3, 0xffff
	s_mul_i32 s30, s29, s12
	s_ashr_i32 s31, s30, 31
	v_rcp_iflag_f32_e32 v2, v1
	v_mov_b32_e32 v1, 0
	v_mad_u64_u32 v[0:1], null, s44, s6, v[0:1]
	s_mov_b32 s6, exec_lo
	v_mul_f32_e32 v2, 0x4f7ffffe, v2
	v_cvt_u32_f32_e32 v2, v2
	v_readfirstlane_b32 s3, v2
	v_cmpx_gt_i64_e64 s[30:31], v[0:1]
	s_cbranch_execz .LBB1_17
; %bb.1:
	s_sub_i32 s6, 0, s2
	s_abs_i32 s33, s13
	s_mul_i32 s6, s6, s3
	s_clause 0x1
	s_load_dwordx4 s[16:19], s[4:5], 0x70
	s_load_dwordx2 s[34:35], s[4:5], 0x90
	s_mul_hi_u32 s6, s3, s6
	s_ashr_i32 s12, s13, 31
	s_add_i32 s3, s3, s6
	s_ashr_i32 s6, s8, 31
	s_mul_hi_u32 s3, s33, s3
	s_xor_b32 s6, s12, s6
	s_mul_i32 s7, s3, s2
	s_add_i32 s8, s3, 1
	s_sub_i32 s7, s33, s7
	v_cvt_f32_u32_e32 v2, s33
	s_waitcnt lgkmcnt(0)
	s_sub_i32 s19, s7, s2
	s_cmp_ge_u32 s7, s2
	s_load_dword s0, s[0:1], 0x0
	s_cselect_b32 s3, s8, s3
	s_cselect_b32 s7, s19, s7
	s_add_i32 s8, s3, 1
	s_cmp_ge_u32 s7, s2
	v_rcp_iflag_f32_e32 v2, v2
	s_cselect_b32 s2, s8, s3
	s_clause 0x1
	s_load_dword s8, s[4:5], 0x7c
	s_load_dwordx4 s[20:23], s[4:5], 0x98
	s_xor_b32 s2, s2, s6
	s_load_dwordx2 s[36:37], s[4:5], 0xa8
	s_sub_i32 s45, s2, s6
	s_cmp_gt_i32 s16, 0
	s_clause 0x1
	s_load_dwordx2 s[38:39], s[4:5], 0x0
	s_load_dwordx4 s[24:27], s[4:5], 0x1c
	s_cselect_b32 s19, -1, 0
	s_cmp_gt_i32 s17, 0
	v_mul_f32_e32 v2, 0x4f7ffffe, v2
	s_cselect_b32 s48, -1, 0
	s_cmp_gt_i32 s18, 0
	s_clause 0x1
	s_load_dword s55, s[4:5], 0x2c
	s_load_dwordx2 s[40:41], s[4:5], 0x30
	s_cselect_b32 s49, -1, 0
	s_sub_i32 s3, s10, s17
	s_sub_i32 s2, s11, s18
	s_mul_i32 s46, s11, s3
	s_ashr_i32 s3, s2, 31
	s_ashr_i32 s47, s46, 31
	s_cmp_lg_u64 s[34:35], 0
	v_cvt_u32_f32_e32 v2, v2
	s_cselect_b32 s50, -1, 0
	s_abs_i32 s51, s28
	s_abs_i32 s52, s15
	v_cvt_f32_u32_e32 v3, s51
	s_abs_i32 s53, s14
	v_cvt_f32_u32_e32 v4, s52
	v_cvt_f32_u32_e32 v5, s53
	s_abs_i32 s54, s45
	v_rcp_iflag_f32_e32 v3, v3
	v_cvt_f32_u32_e32 v6, s54
	v_rcp_iflag_f32_e32 v4, v4
	v_rcp_iflag_f32_e32 v5, v5
	s_sub_i32 s1, 0, s51
	s_sub_i32 s6, 0, s52
	v_rcp_iflag_f32_e32 v6, v6
	s_mov_b32 s56, 0
	s_waitcnt lgkmcnt(0)
	s_mul_i32 s57, s0, s44
	s_ashr_i32 s58, s28, 31
	v_mul_f32_e32 v3, 0x4f7ffffe, v3
	s_ashr_i32 s59, s15, 31
	v_mul_f32_e32 v4, 0x4f7ffffe, v4
	v_mul_f32_e32 v5, 0x4f7ffffe, v5
	s_ashr_i32 s60, s14, 31
	v_cvt_u32_f32_e32 v3, v3
	v_mul_f32_e32 v6, 0x4f7ffffe, v6
	v_cvt_u32_f32_e32 v4, v4
	v_cvt_u32_f32_e32 v5, v5
	s_ashr_i32 s61, s45, 31
	v_mul_lo_u32 v7, s1, v3
	v_cvt_u32_f32_e32 v6, v6
	s_sub_i32 s1, 0, s53
	v_mul_lo_u32 v8, s6, v4
	v_mul_lo_u32 v9, s1, v5
	s_sub_i32 s1, 0, s33
	s_sub_i32 s6, 0, s54
	v_mul_lo_u32 v10, s1, v2
	v_mul_lo_u32 v11, s6, v6
	s_clause 0x1
	s_load_dwordx2 s[42:43], s[4:5], 0x60
	s_load_dwordx4 s[4:7], s[4:5], 0x50
	v_mul_hi_u32 v7, v3, v7
	v_mul_hi_u32 v8, v4, v8
	;; [unrolled: 1-line block ×3, first 2 shown]
	s_lshl_b64 s[44:45], s[2:3], 3
	s_lshl_b64 s[46:47], s[46:47], 3
	v_mul_hi_u32 v13, v2, v10
	v_mul_hi_u32 v14, v6, v11
	v_add_nc_u32_e32 v10, v3, v7
	v_add_nc_u32_e32 v11, v4, v8
	;; [unrolled: 1-line block ×5, first 2 shown]
	s_branch .LBB1_3
.LBB1_2:                                ;   in Loop: Header=BB1_3 Depth=1
	v_mul_lo_u32 v6, v18, s29
	s_waitcnt lgkmcnt(0)
	v_mul_lo_u32 v2, s4, v2
	v_mul_lo_u32 v8, s5, v17
	;; [unrolled: 1-line block ×3, first 2 shown]
	v_add_co_u32 v0, vcc_lo, v0, s57
	v_mul_lo_u32 v18, s7, v15
	v_add_co_ci_u32_e64 v1, null, 0, v1, vcc_lo
	v_ashrrev_i32_e32 v7, 31, v6
	v_ashrrev_i32_e32 v3, 31, v2
	;; [unrolled: 1-line block ×4, first 2 shown]
	v_lshlrev_b64 v[6:7], 3, v[6:7]
	v_lshlrev_b64 v[2:3], 3, v[2:3]
	v_ashrrev_i32_e32 v19, 31, v18
	v_add_co_u32 v15, vcc_lo, s40, v6
	v_add_co_ci_u32_e64 v20, null, s41, v7, vcc_lo
	v_lshlrev_b64 v[6:7], 3, v[8:9]
	v_add_co_u32 v8, vcc_lo, v15, v2
	v_add_co_ci_u32_e64 v9, null, v20, v3, vcc_lo
	v_lshlrev_b64 v[2:3], 3, v[16:17]
	;; [unrolled: 3-line block ×3, first 2 shown]
	v_add_co_u32 v2, vcc_lo, v8, v2
	v_add_co_ci_u32_e64 v3, null, v9, v3, vcc_lo
	v_cmp_le_i64_e32 vcc_lo, s[30:31], v[0:1]
	v_add_co_u32 v2, s0, v2, v6
	v_add_co_ci_u32_e64 v3, null, v3, v7, s0
	s_or_b32 s56, vcc_lo, s56
	global_store_dwordx2 v[2:3], v[4:5], off
	s_andn2_b32 exec_lo, exec_lo, s56
	s_cbranch_execz .LBB1_17
.LBB1_3:                                ; =>This Loop Header: Depth=1
                                        ;     Child Loop BB1_6 Depth 2
                                        ;       Child Loop BB1_9 Depth 3
                                        ;         Child Loop BB1_12 Depth 4
	v_sub_nc_u32_e32 v2, 0, v0
	v_max_i32_e32 v2, v0, v2
	v_mul_hi_u32 v3, v2, v10
	v_mul_lo_u32 v4, v3, s51
	v_sub_nc_u32_e32 v2, v2, v4
	v_add_nc_u32_e32 v4, 1, v3
	v_subrev_nc_u32_e32 v5, s51, v2
	v_cmp_le_u32_e32 vcc_lo, s51, v2
	v_cndmask_b32_e32 v3, v3, v4, vcc_lo
	v_cndmask_b32_e32 v2, v2, v5, vcc_lo
	v_ashrrev_i32_e32 v4, 31, v0
	v_add_nc_u32_e32 v5, 1, v3
	v_cmp_le_u32_e32 vcc_lo, s51, v2
	v_xor_b32_e32 v4, s58, v4
	v_cndmask_b32_e32 v2, v3, v5, vcc_lo
	v_xor_b32_e32 v2, v2, v4
	v_sub_nc_u32_e32 v3, v2, v4
	v_sub_nc_u32_e32 v2, 0, v3
	v_max_i32_e32 v2, v3, v2
	v_mul_hi_u32 v4, v2, v11
	v_mul_lo_u32 v5, v4, s52
	v_sub_nc_u32_e32 v2, v2, v5
	v_add_nc_u32_e32 v5, 1, v4
	v_subrev_nc_u32_e32 v6, s52, v2
	v_cmp_le_u32_e32 vcc_lo, s52, v2
	v_cndmask_b32_e32 v4, v4, v5, vcc_lo
	v_cndmask_b32_e32 v2, v2, v6, vcc_lo
	v_ashrrev_i32_e32 v5, 31, v3
	v_add_nc_u32_e32 v6, 1, v4
	v_cmp_le_u32_e32 vcc_lo, s52, v2
	v_xor_b32_e32 v5, s59, v5
	v_cndmask_b32_e32 v2, v4, v6, vcc_lo
	v_xor_b32_e32 v2, v2, v5
	v_sub_nc_u32_e32 v4, v2, v5
	;; [unrolled: 17-line block ×3, first 2 shown]
	v_sub_nc_u32_e32 v5, 0, v2
	v_max_i32_e32 v5, v2, v5
	v_mul_hi_u32 v6, v5, v13
	v_mul_lo_u32 v7, v6, s33
	v_sub_nc_u32_e32 v5, v5, v7
	v_add_nc_u32_e32 v7, 1, v6
	v_subrev_nc_u32_e32 v8, s33, v5
	v_cmp_le_u32_e32 vcc_lo, s33, v5
	v_cndmask_b32_e32 v6, v6, v7, vcc_lo
	v_cndmask_b32_e32 v5, v5, v8, vcc_lo
	v_ashrrev_i32_e32 v7, 31, v2
	v_add_nc_u32_e32 v8, 1, v6
	v_cmp_le_u32_e32 vcc_lo, s33, v5
	v_xor_b32_e32 v7, s12, v7
	v_cndmask_b32_e32 v5, v6, v8, vcc_lo
	v_mul_lo_u32 v6, v3, s28
	v_mul_lo_u32 v8, v2, s14
	s_andn2_b32 vcc_lo, exec_lo, s19
	v_xor_b32_e32 v5, v5, v7
	v_sub_nc_u32_e32 v15, v0, v6
	v_sub_nc_u32_e32 v18, v5, v7
	v_mul_lo_u32 v7, v4, s15
	v_sub_nc_u32_e32 v17, v4, v8
	v_mul_lo_u32 v5, v18, s13
	v_sub_nc_u32_e32 v16, v3, v7
	v_sub_nc_u32_e32 v2, v2, v5
	v_ashrrev_i32_e32 v3, 31, v2
	s_cbranch_vccnz .LBB1_14
; %bb.4:                                ;   in Loop: Header=BB1_3 Depth=1
	v_sub_nc_u32_e32 v4, 0, v2
	v_mul_lo_u32 v20, v16, s21
	v_mul_lo_u32 v9, v15, s22
	;; [unrolled: 1-line block ×3, first 2 shown]
	s_mov_b32 s3, 0
	v_max_i32_e32 v4, v2, v4
	v_subrev_nc_u32_e32 v20, s36, v20
	v_mul_hi_u32 v5, v4, v14
	v_subrev_nc_u32_e32 v21, s37, v9
	v_ashrrev_i32_e32 v9, 31, v8
	v_mul_lo_u32 v26, s27, v20
	v_mul_lo_u32 v28, s55, v21
	v_lshlrev_b64 v[8:9], 3, v[8:9]
	v_mul_lo_u32 v6, v5, s54
	v_ashrrev_i32_e32 v27, 31, v26
	v_ashrrev_i32_e32 v29, 31, v28
	v_sub_nc_u32_e32 v4, v4, v6
	v_add_nc_u32_e32 v6, 1, v5
	v_subrev_nc_u32_e32 v7, s54, v4
	v_cmp_le_u32_e32 vcc_lo, s54, v4
	v_cndmask_b32_e32 v5, v5, v6, vcc_lo
	v_cndmask_b32_e32 v4, v4, v7, vcc_lo
	v_xor_b32_e32 v7, s61, v3
	v_add_nc_u32_e32 v6, 1, v5
	v_cmp_le_u32_e32 vcc_lo, s54, v4
	v_cndmask_b32_e32 v4, v5, v6, vcc_lo
	v_mul_lo_u32 v5, v17, s20
	v_mul_lo_u32 v6, s24, v18
	v_xor_b32_e32 v4, v4, v7
	v_subrev_nc_u32_e32 v19, s23, v5
	v_sub_nc_u32_e32 v4, v4, v7
	v_ashrrev_i32_e32 v7, 31, v6
	v_mul_lo_u32 v24, s26, v19
	v_mul_lo_u32 v22, s25, v4
	v_lshlrev_b64 v[6:7], 3, v[6:7]
	v_mov_b32_e32 v4, 0
	v_mov_b32_e32 v5, 0
	v_ashrrev_i32_e32 v25, 31, v24
	v_ashrrev_i32_e32 v23, 31, v22
	v_add_co_u32 v30, vcc_lo, s38, v6
	v_add_co_ci_u32_e64 v31, null, s39, v7, vcc_lo
	v_lshlrev_b64 v[22:23], 3, v[22:23]
	v_lshlrev_b64 v[6:7], 3, v[24:25]
	v_add_co_u32 v24, vcc_lo, v30, v22
	v_add_co_ci_u32_e64 v25, null, v31, v23, vcc_lo
	v_lshlrev_b64 v[22:23], 3, v[26:27]
	v_add_co_u32 v24, vcc_lo, v24, v6
	v_add_co_ci_u32_e64 v25, null, v25, v7, vcc_lo
	v_lshlrev_b64 v[6:7], 3, v[28:29]
	v_add_co_u32 v22, vcc_lo, v24, v22
	v_add_co_ci_u32_e64 v23, null, v25, v23, vcc_lo
	v_add_co_u32 v6, vcc_lo, v22, v6
	v_add_co_ci_u32_e64 v7, null, v23, v7, vcc_lo
	s_waitcnt lgkmcnt(0)
	v_add_co_u32 v8, vcc_lo, s42, v8
	v_add_co_ci_u32_e64 v9, null, s43, v9, vcc_lo
	s_branch .LBB1_6
.LBB1_5:                                ;   in Loop: Header=BB1_6 Depth=2
	s_inst_prefetch 0x2
	v_add_co_u32 v6, vcc_lo, v6, s46
	v_add_co_ci_u32_e64 v7, null, s47, v7, vcc_lo
	s_add_i32 s3, s3, 1
	s_cmp_eq_u32 s3, s16
	s_cbranch_scc1 .LBB1_15
.LBB1_6:                                ;   Parent Loop BB1_3 Depth=1
                                        ; =>  This Loop Header: Depth=2
                                        ;       Child Loop BB1_9 Depth 3
                                        ;         Child Loop BB1_12 Depth 4
	s_andn2_b32 vcc_lo, exec_lo, s48
	s_cbranch_vccnz .LBB1_5
; %bb.7:                                ;   in Loop: Header=BB1_6 Depth=2
	v_add_nc_u32_e32 v22, s3, v19
	s_mov_b32 s62, 0
	v_cmp_lt_i32_e64 s0, -1, v22
	v_cmp_gt_i32_e64 s1, s9, v22
	s_inst_prefetch 0x1
	s_branch .LBB1_9
	.p2align	6
.LBB1_8:                                ;   in Loop: Header=BB1_9 Depth=3
	v_add_co_u32 v6, vcc_lo, v6, s44
	v_add_co_ci_u32_e64 v7, null, s45, v7, vcc_lo
	s_add_i32 s62, s62, 1
	s_cmp_eq_u32 s62, s17
	s_cbranch_scc1 .LBB1_5
.LBB1_9:                                ;   Parent Loop BB1_3 Depth=1
                                        ;     Parent Loop BB1_6 Depth=2
                                        ; =>    This Loop Header: Depth=3
                                        ;         Child Loop BB1_12 Depth 4
	s_andn2_b32 vcc_lo, exec_lo, s49
	s_cbranch_vccnz .LBB1_8
; %bb.10:                               ;   in Loop: Header=BB1_9 Depth=3
	v_add_nc_u32_e32 v23, s62, v20
	v_mov_b32_e32 v22, v21
	s_mov_b32 s64, s18
	v_cmp_lt_i32_e64 s2, -1, v23
	v_cmp_gt_i32_e32 vcc_lo, s10, v23
	s_and_b32 s63, s0, s2
	s_branch .LBB1_12
	.p2align	6
.LBB1_11:                               ;   in Loop: Header=BB1_12 Depth=4
	s_or_b32 exec_lo, exec_lo, s2
	v_add_co_u32 v8, s2, v8, 8
	v_add_co_ci_u32_e64 v9, null, 0, v9, s2
	v_add_co_u32 v6, s2, v6, 8
	v_add_co_ci_u32_e64 v7, null, 0, v7, s2
	v_add_nc_u32_e32 v22, 1, v22
	s_add_i32 s64, s64, -1
	s_cmp_eq_u32 s64, 0
	s_cbranch_scc1 .LBB1_8
.LBB1_12:                               ;   Parent Loop BB1_3 Depth=1
                                        ;     Parent Loop BB1_6 Depth=2
                                        ;       Parent Loop BB1_9 Depth=3
                                        ; =>      This Inner Loop Header: Depth=4
	v_cmp_lt_i32_e64 s2, -1, v22
	s_and_b32 s65, s63, s2
	v_cmp_gt_i32_e64 s2, s11, v22
	s_and_b32 s65, s65, s1
	s_and_b32 s65, s65, vcc_lo
	s_and_b32 s65, s65, s2
	s_and_saveexec_b32 s2, s65
	s_cbranch_execz .LBB1_11
; %bb.13:                               ;   in Loop: Header=BB1_12 Depth=4
	global_load_dwordx2 v[23:24], v[8:9], off
	global_load_dwordx2 v[25:26], v[6:7], off
	s_waitcnt vmcnt(0)
	v_fma_f64 v[4:5], v[23:24], v[25:26], v[4:5]
	s_branch .LBB1_11
.LBB1_14:                               ;   in Loop: Header=BB1_3 Depth=1
	v_mov_b32_e32 v4, 0
	v_mov_b32_e32 v5, 0
.LBB1_15:                               ;   in Loop: Header=BB1_3 Depth=1
	s_and_b32 vcc_lo, exec_lo, s50
	s_cbranch_vccz .LBB1_2
; %bb.16:                               ;   in Loop: Header=BB1_3 Depth=1
	v_lshlrev_b64 v[6:7], 3, v[2:3]
	v_add_co_u32 v6, vcc_lo, s34, v6
	v_add_co_ci_u32_e64 v7, null, s35, v7, vcc_lo
	global_load_dwordx2 v[6:7], v[6:7], off
	s_waitcnt vmcnt(0)
	v_add_f64 v[4:5], v[4:5], v[6:7]
	s_branch .LBB1_2
.LBB1_17:
	s_endpgm
	.section	.rodata,"a",@progbits
	.p2align	6, 0x0
	.amdhsa_kernel _ZN2at6native12_GLOBAL__N_128conv_depthwise3d_cuda_kernelIddLin1ELin1ELin1ELi1ELi1ELi1EEEvN5torch10headeronly6detail27GenericPackedTensorAccessorINS5_14TensorAccessorIN3c108ArrayRefIlEEKT_Lm4ENS4_16DefaultPtrTraitsEiEENS_6detail16IndexBoundsCheckILm5EiEESC_Lm5ESD_iEENS6_INS7_ISA_SB_Lm4ESD_iEESH_SB_Lm5ESD_iEESI_PSC_iiiiiiiii
		.amdhsa_group_segment_fixed_size 0
		.amdhsa_private_segment_fixed_size 0
		.amdhsa_kernarg_size 448
		.amdhsa_user_sgpr_count 6
		.amdhsa_user_sgpr_private_segment_buffer 1
		.amdhsa_user_sgpr_dispatch_ptr 0
		.amdhsa_user_sgpr_queue_ptr 0
		.amdhsa_user_sgpr_kernarg_segment_ptr 1
		.amdhsa_user_sgpr_dispatch_id 0
		.amdhsa_user_sgpr_flat_scratch_init 0
		.amdhsa_user_sgpr_private_segment_size 0
		.amdhsa_wavefront_size32 1
		.amdhsa_uses_dynamic_stack 0
		.amdhsa_system_sgpr_private_segment_wavefront_offset 0
		.amdhsa_system_sgpr_workgroup_id_x 1
		.amdhsa_system_sgpr_workgroup_id_y 0
		.amdhsa_system_sgpr_workgroup_id_z 0
		.amdhsa_system_sgpr_workgroup_info 0
		.amdhsa_system_vgpr_workitem_id 0
		.amdhsa_next_free_vgpr 32
		.amdhsa_next_free_sgpr 66
		.amdhsa_reserve_vcc 1
		.amdhsa_reserve_flat_scratch 0
		.amdhsa_float_round_mode_32 0
		.amdhsa_float_round_mode_16_64 0
		.amdhsa_float_denorm_mode_32 3
		.amdhsa_float_denorm_mode_16_64 3
		.amdhsa_dx10_clamp 1
		.amdhsa_ieee_mode 1
		.amdhsa_fp16_overflow 0
		.amdhsa_workgroup_processor_mode 1
		.amdhsa_memory_ordered 1
		.amdhsa_forward_progress 1
		.amdhsa_shared_vgpr_count 0
		.amdhsa_exception_fp_ieee_invalid_op 0
		.amdhsa_exception_fp_denorm_src 0
		.amdhsa_exception_fp_ieee_div_zero 0
		.amdhsa_exception_fp_ieee_overflow 0
		.amdhsa_exception_fp_ieee_underflow 0
		.amdhsa_exception_fp_ieee_inexact 0
		.amdhsa_exception_int_div_zero 0
	.end_amdhsa_kernel
	.section	.text._ZN2at6native12_GLOBAL__N_128conv_depthwise3d_cuda_kernelIddLin1ELin1ELin1ELi1ELi1ELi1EEEvN5torch10headeronly6detail27GenericPackedTensorAccessorINS5_14TensorAccessorIN3c108ArrayRefIlEEKT_Lm4ENS4_16DefaultPtrTraitsEiEENS_6detail16IndexBoundsCheckILm5EiEESC_Lm5ESD_iEENS6_INS7_ISA_SB_Lm4ESD_iEESH_SB_Lm5ESD_iEESI_PSC_iiiiiiiii,"axG",@progbits,_ZN2at6native12_GLOBAL__N_128conv_depthwise3d_cuda_kernelIddLin1ELin1ELin1ELi1ELi1ELi1EEEvN5torch10headeronly6detail27GenericPackedTensorAccessorINS5_14TensorAccessorIN3c108ArrayRefIlEEKT_Lm4ENS4_16DefaultPtrTraitsEiEENS_6detail16IndexBoundsCheckILm5EiEESC_Lm5ESD_iEENS6_INS7_ISA_SB_Lm4ESD_iEESH_SB_Lm5ESD_iEESI_PSC_iiiiiiiii,comdat
.Lfunc_end1:
	.size	_ZN2at6native12_GLOBAL__N_128conv_depthwise3d_cuda_kernelIddLin1ELin1ELin1ELi1ELi1ELi1EEEvN5torch10headeronly6detail27GenericPackedTensorAccessorINS5_14TensorAccessorIN3c108ArrayRefIlEEKT_Lm4ENS4_16DefaultPtrTraitsEiEENS_6detail16IndexBoundsCheckILm5EiEESC_Lm5ESD_iEENS6_INS7_ISA_SB_Lm4ESD_iEESH_SB_Lm5ESD_iEESI_PSC_iiiiiiiii, .Lfunc_end1-_ZN2at6native12_GLOBAL__N_128conv_depthwise3d_cuda_kernelIddLin1ELin1ELin1ELi1ELi1ELi1EEEvN5torch10headeronly6detail27GenericPackedTensorAccessorINS5_14TensorAccessorIN3c108ArrayRefIlEEKT_Lm4ENS4_16DefaultPtrTraitsEiEENS_6detail16IndexBoundsCheckILm5EiEESC_Lm5ESD_iEENS6_INS7_ISA_SB_Lm4ESD_iEESH_SB_Lm5ESD_iEESI_PSC_iiiiiiiii
                                        ; -- End function
	.set _ZN2at6native12_GLOBAL__N_128conv_depthwise3d_cuda_kernelIddLin1ELin1ELin1ELi1ELi1ELi1EEEvN5torch10headeronly6detail27GenericPackedTensorAccessorINS5_14TensorAccessorIN3c108ArrayRefIlEEKT_Lm4ENS4_16DefaultPtrTraitsEiEENS_6detail16IndexBoundsCheckILm5EiEESC_Lm5ESD_iEENS6_INS7_ISA_SB_Lm4ESD_iEESH_SB_Lm5ESD_iEESI_PSC_iiiiiiiii.num_vgpr, 32
	.set _ZN2at6native12_GLOBAL__N_128conv_depthwise3d_cuda_kernelIddLin1ELin1ELin1ELi1ELi1ELi1EEEvN5torch10headeronly6detail27GenericPackedTensorAccessorINS5_14TensorAccessorIN3c108ArrayRefIlEEKT_Lm4ENS4_16DefaultPtrTraitsEiEENS_6detail16IndexBoundsCheckILm5EiEESC_Lm5ESD_iEENS6_INS7_ISA_SB_Lm4ESD_iEESH_SB_Lm5ESD_iEESI_PSC_iiiiiiiii.num_agpr, 0
	.set _ZN2at6native12_GLOBAL__N_128conv_depthwise3d_cuda_kernelIddLin1ELin1ELin1ELi1ELi1ELi1EEEvN5torch10headeronly6detail27GenericPackedTensorAccessorINS5_14TensorAccessorIN3c108ArrayRefIlEEKT_Lm4ENS4_16DefaultPtrTraitsEiEENS_6detail16IndexBoundsCheckILm5EiEESC_Lm5ESD_iEENS6_INS7_ISA_SB_Lm4ESD_iEESH_SB_Lm5ESD_iEESI_PSC_iiiiiiiii.numbered_sgpr, 66
	.set _ZN2at6native12_GLOBAL__N_128conv_depthwise3d_cuda_kernelIddLin1ELin1ELin1ELi1ELi1ELi1EEEvN5torch10headeronly6detail27GenericPackedTensorAccessorINS5_14TensorAccessorIN3c108ArrayRefIlEEKT_Lm4ENS4_16DefaultPtrTraitsEiEENS_6detail16IndexBoundsCheckILm5EiEESC_Lm5ESD_iEENS6_INS7_ISA_SB_Lm4ESD_iEESH_SB_Lm5ESD_iEESI_PSC_iiiiiiiii.num_named_barrier, 0
	.set _ZN2at6native12_GLOBAL__N_128conv_depthwise3d_cuda_kernelIddLin1ELin1ELin1ELi1ELi1ELi1EEEvN5torch10headeronly6detail27GenericPackedTensorAccessorINS5_14TensorAccessorIN3c108ArrayRefIlEEKT_Lm4ENS4_16DefaultPtrTraitsEiEENS_6detail16IndexBoundsCheckILm5EiEESC_Lm5ESD_iEENS6_INS7_ISA_SB_Lm4ESD_iEESH_SB_Lm5ESD_iEESI_PSC_iiiiiiiii.private_seg_size, 0
	.set _ZN2at6native12_GLOBAL__N_128conv_depthwise3d_cuda_kernelIddLin1ELin1ELin1ELi1ELi1ELi1EEEvN5torch10headeronly6detail27GenericPackedTensorAccessorINS5_14TensorAccessorIN3c108ArrayRefIlEEKT_Lm4ENS4_16DefaultPtrTraitsEiEENS_6detail16IndexBoundsCheckILm5EiEESC_Lm5ESD_iEENS6_INS7_ISA_SB_Lm4ESD_iEESH_SB_Lm5ESD_iEESI_PSC_iiiiiiiii.uses_vcc, 1
	.set _ZN2at6native12_GLOBAL__N_128conv_depthwise3d_cuda_kernelIddLin1ELin1ELin1ELi1ELi1ELi1EEEvN5torch10headeronly6detail27GenericPackedTensorAccessorINS5_14TensorAccessorIN3c108ArrayRefIlEEKT_Lm4ENS4_16DefaultPtrTraitsEiEENS_6detail16IndexBoundsCheckILm5EiEESC_Lm5ESD_iEENS6_INS7_ISA_SB_Lm4ESD_iEESH_SB_Lm5ESD_iEESI_PSC_iiiiiiiii.uses_flat_scratch, 0
	.set _ZN2at6native12_GLOBAL__N_128conv_depthwise3d_cuda_kernelIddLin1ELin1ELin1ELi1ELi1ELi1EEEvN5torch10headeronly6detail27GenericPackedTensorAccessorINS5_14TensorAccessorIN3c108ArrayRefIlEEKT_Lm4ENS4_16DefaultPtrTraitsEiEENS_6detail16IndexBoundsCheckILm5EiEESC_Lm5ESD_iEENS6_INS7_ISA_SB_Lm4ESD_iEESH_SB_Lm5ESD_iEESI_PSC_iiiiiiiii.has_dyn_sized_stack, 0
	.set _ZN2at6native12_GLOBAL__N_128conv_depthwise3d_cuda_kernelIddLin1ELin1ELin1ELi1ELi1ELi1EEEvN5torch10headeronly6detail27GenericPackedTensorAccessorINS5_14TensorAccessorIN3c108ArrayRefIlEEKT_Lm4ENS4_16DefaultPtrTraitsEiEENS_6detail16IndexBoundsCheckILm5EiEESC_Lm5ESD_iEENS6_INS7_ISA_SB_Lm4ESD_iEESH_SB_Lm5ESD_iEESI_PSC_iiiiiiiii.has_recursion, 0
	.set _ZN2at6native12_GLOBAL__N_128conv_depthwise3d_cuda_kernelIddLin1ELin1ELin1ELi1ELi1ELi1EEEvN5torch10headeronly6detail27GenericPackedTensorAccessorINS5_14TensorAccessorIN3c108ArrayRefIlEEKT_Lm4ENS4_16DefaultPtrTraitsEiEENS_6detail16IndexBoundsCheckILm5EiEESC_Lm5ESD_iEENS6_INS7_ISA_SB_Lm4ESD_iEESH_SB_Lm5ESD_iEESI_PSC_iiiiiiiii.has_indirect_call, 0
	.section	.AMDGPU.csdata,"",@progbits
; Kernel info:
; codeLenInByte = 1984
; TotalNumSgprs: 68
; NumVgprs: 32
; ScratchSize: 0
; MemoryBound: 1
; FloatMode: 240
; IeeeMode: 1
; LDSByteSize: 0 bytes/workgroup (compile time only)
; SGPRBlocks: 0
; VGPRBlocks: 3
; NumSGPRsForWavesPerEU: 68
; NumVGPRsForWavesPerEU: 32
; Occupancy: 16
; WaveLimiterHint : 0
; COMPUTE_PGM_RSRC2:SCRATCH_EN: 0
; COMPUTE_PGM_RSRC2:USER_SGPR: 6
; COMPUTE_PGM_RSRC2:TRAP_HANDLER: 0
; COMPUTE_PGM_RSRC2:TGID_X_EN: 1
; COMPUTE_PGM_RSRC2:TGID_Y_EN: 0
; COMPUTE_PGM_RSRC2:TGID_Z_EN: 0
; COMPUTE_PGM_RSRC2:TIDIG_COMP_CNT: 0
	.section	.text._ZN2at6native12_GLOBAL__N_128conv_depthwise3d_cuda_kernelIddLin1ELin1ELin1ELin1ELin1ELin1EEEvN5torch10headeronly6detail27GenericPackedTensorAccessorINS5_14TensorAccessorIN3c108ArrayRefIlEEKT_Lm4ENS4_16DefaultPtrTraitsEiEENS_6detail16IndexBoundsCheckILm5EiEESC_Lm5ESD_iEENS6_INS7_ISA_SB_Lm4ESD_iEESH_SB_Lm5ESD_iEESI_PSC_iiiiiiiii,"axG",@progbits,_ZN2at6native12_GLOBAL__N_128conv_depthwise3d_cuda_kernelIddLin1ELin1ELin1ELin1ELin1ELin1EEEvN5torch10headeronly6detail27GenericPackedTensorAccessorINS5_14TensorAccessorIN3c108ArrayRefIlEEKT_Lm4ENS4_16DefaultPtrTraitsEiEENS_6detail16IndexBoundsCheckILm5EiEESC_Lm5ESD_iEENS6_INS7_ISA_SB_Lm4ESD_iEESH_SB_Lm5ESD_iEESI_PSC_iiiiiiiii,comdat
	.globl	_ZN2at6native12_GLOBAL__N_128conv_depthwise3d_cuda_kernelIddLin1ELin1ELin1ELin1ELin1ELin1EEEvN5torch10headeronly6detail27GenericPackedTensorAccessorINS5_14TensorAccessorIN3c108ArrayRefIlEEKT_Lm4ENS4_16DefaultPtrTraitsEiEENS_6detail16IndexBoundsCheckILm5EiEESC_Lm5ESD_iEENS6_INS7_ISA_SB_Lm4ESD_iEESH_SB_Lm5ESD_iEESI_PSC_iiiiiiiii ; -- Begin function _ZN2at6native12_GLOBAL__N_128conv_depthwise3d_cuda_kernelIddLin1ELin1ELin1ELin1ELin1ELin1EEEvN5torch10headeronly6detail27GenericPackedTensorAccessorINS5_14TensorAccessorIN3c108ArrayRefIlEEKT_Lm4ENS4_16DefaultPtrTraitsEiEENS_6detail16IndexBoundsCheckILm5EiEESC_Lm5ESD_iEENS6_INS7_ISA_SB_Lm4ESD_iEESH_SB_Lm5ESD_iEESI_PSC_iiiiiiiii
	.p2align	8
	.type	_ZN2at6native12_GLOBAL__N_128conv_depthwise3d_cuda_kernelIddLin1ELin1ELin1ELin1ELin1ELin1EEEvN5torch10headeronly6detail27GenericPackedTensorAccessorINS5_14TensorAccessorIN3c108ArrayRefIlEEKT_Lm4ENS4_16DefaultPtrTraitsEiEENS_6detail16IndexBoundsCheckILm5EiEESC_Lm5ESD_iEENS6_INS7_ISA_SB_Lm4ESD_iEESH_SB_Lm5ESD_iEESI_PSC_iiiiiiiii,@function
_ZN2at6native12_GLOBAL__N_128conv_depthwise3d_cuda_kernelIddLin1ELin1ELin1ELin1ELin1ELin1EEEvN5torch10headeronly6detail27GenericPackedTensorAccessorINS5_14TensorAccessorIN3c108ArrayRefIlEEKT_Lm4ENS4_16DefaultPtrTraitsEiEENS_6detail16IndexBoundsCheckILm5EiEESC_Lm5ESD_iEENS6_INS7_ISA_SB_Lm4ESD_iEESH_SB_Lm5ESD_iEESI_PSC_iiiiiiiii: ; @_ZN2at6native12_GLOBAL__N_128conv_depthwise3d_cuda_kernelIddLin1ELin1ELin1ELin1ELin1ELin1EEEvN5torch10headeronly6detail27GenericPackedTensorAccessorINS5_14TensorAccessorIN3c108ArrayRefIlEEKT_Lm4ENS4_16DefaultPtrTraitsEiEENS_6detail16IndexBoundsCheckILm5EiEESC_Lm5ESD_iEENS6_INS7_ISA_SB_Lm4ESD_iEESH_SB_Lm5ESD_iEESI_PSC_iiiiiiiii
; %bb.0:
	s_clause 0x3
	s_load_dwordx4 s[16:19], s[4:5], 0xc
	s_load_dword s3, s[4:5], 0xcc
	s_load_dwordx4 s[20:23], s[4:5], 0x38
	s_load_dwordx2 s[34:35], s[4:5], 0x48
	s_waitcnt lgkmcnt(0)
	s_abs_i32 s2, s16
	s_add_u32 s0, s4, 0xc0
	v_cvt_f32_u32_e32 v1, s2
	s_addc_u32 s1, s5, 0
	s_and_b32 s48, s3, 0xffff
	s_mul_i32 s36, s35, s20
	s_ashr_i32 s37, s36, 31
	v_rcp_iflag_f32_e32 v2, v1
	v_mov_b32_e32 v1, 0
	v_mad_u64_u32 v[0:1], null, s48, s6, v[0:1]
	s_mov_b32 s6, exec_lo
	v_mul_f32_e32 v2, 0x4f7ffffe, v2
	v_cvt_u32_f32_e32 v2, v2
	v_readfirstlane_b32 s3, v2
	v_cmpx_gt_i64_e64 s[36:37], v[0:1]
	s_cbranch_execz .LBB2_17
; %bb.1:
	s_sub_i32 s6, 0, s2
	s_ashr_i32 s7, s16, 31
	s_mul_i32 s6, s6, s3
	s_abs_i32 s16, s21
	s_mul_hi_u32 s6, s3, s6
	s_clause 0x1
	s_load_dwordx4 s[24:27], s[4:5], 0x70
	s_load_dwordx2 s[40:41], s[4:5], 0x90
	s_add_i32 s3, s3, s6
	s_load_dwordx8 s[8:15], s[4:5], 0x98
	s_mul_hi_u32 s3, s16, s3
	s_ashr_i32 s20, s21, 31
	s_mul_i32 s6, s3, s2
	s_load_dword s38, s[4:5], 0xb8
	s_sub_i32 s6, s16, s6
	s_xor_b32 s7, s20, s7
	s_waitcnt lgkmcnt(0)
	s_add_i32 s27, s3, 1
	s_sub_i32 s28, s6, s2
	s_cmp_ge_u32 s6, s2
	v_cvt_f32_u32_e32 v5, s16
	s_cselect_b32 s3, s27, s3
	s_cselect_b32 s6, s28, s6
	s_add_i32 s27, s3, 1
	s_cmp_ge_u32 s6, s2
	v_rcp_iflag_f32_e32 v5, v5
	s_cselect_b32 s2, s27, s3
	s_load_dword s0, s[0:1], 0x0
	s_xor_b32 s2, s2, s7
	s_load_dword s27, s[4:5], 0x7c
	s_sub_i32 s49, s2, s7
	s_cmp_gt_i32 s24, 0
	s_mul_i32 s3, s18, s14
	s_cselect_b32 s33, -1, 0
	s_cmp_gt_i32 s25, 0
	s_mul_i32 s6, s25, s15
	s_cselect_b32 s54, -1, 0
	;; [unrolled: 3-line block ×3, first 2 shown]
	s_mul_i32 s7, s26, s38
	s_sub_i32 s3, s3, s6
	s_sub_i32 s2, s2, s7
	s_mul_i32 s52, s3, s19
	s_ashr_i32 s39, s38, 31
	s_ashr_i32 s3, s2, 31
	;; [unrolled: 1-line block ×3, first 2 shown]
	s_cmp_lg_u64 s[40:41], 0
	v_mul_f32_e32 v5, 0x4f7ffffe, v5
	s_cselect_b32 s56, -1, 0
	s_abs_i32 s57, s34
	s_abs_i32 s58, s23
	v_cvt_f32_u32_e32 v2, s57
	s_abs_i32 s60, s22
	v_cvt_f32_u32_e32 v3, s58
	v_cvt_f32_u32_e32 v4, s60
	s_abs_i32 s61, s49
	v_rcp_iflag_f32_e32 v2, v2
	v_cvt_f32_u32_e32 v6, s61
	v_rcp_iflag_f32_e32 v3, v3
	v_rcp_iflag_f32_e32 v4, v4
	s_sub_i32 s1, 0, s57
	v_cvt_u32_f32_e32 v5, v5
	v_rcp_iflag_f32_e32 v6, v6
	s_sub_i32 s6, 0, s58
	s_clause 0x3
	s_load_dwordx2 s[42:43], s[4:5], 0x0
	s_load_dwordx4 s[28:31], s[4:5], 0x1c
	s_load_dword s62, s[4:5], 0x2c
	s_load_dwordx2 s[44:45], s[4:5], 0x30
	v_mul_f32_e32 v2, 0x4f7ffffe, v2
	s_mov_b32 s59, 0
	v_mul_f32_e32 v3, 0x4f7ffffe, v3
	v_mul_f32_e32 v4, 0x4f7ffffe, v4
	s_waitcnt lgkmcnt(0)
	s_mul_i32 s63, s0, s48
	v_cvt_u32_f32_e32 v2, v2
	v_mul_f32_e32 v6, 0x4f7ffffe, v6
	v_cvt_u32_f32_e32 v3, v3
	v_cvt_u32_f32_e32 v4, v4
	s_ashr_i32 s64, s34, 31
	v_mul_lo_u32 v7, s1, v2
	v_cvt_u32_f32_e32 v6, v6
	s_sub_i32 s1, 0, s60
	v_mul_lo_u32 v8, s6, v3
	s_sub_i32 s6, 0, s16
	v_mul_lo_u32 v9, s1, v4
	;; [unrolled: 2-line block ×3, first 2 shown]
	v_mul_lo_u32 v11, s1, v6
	s_clause 0x1
	s_load_dwordx2 s[46:47], s[4:5], 0x60
	s_load_dwordx4 s[4:7], s[4:5], 0x50
	v_mul_hi_u32 v7, v2, v7
	v_mul_hi_u32 v8, v3, v8
	s_ashr_i32 s65, s23, 31
	v_mul_hi_u32 v9, v4, v9
	s_ashr_i32 s66, s22, 31
	v_mul_hi_u32 v10, v5, v10
	v_mul_hi_u32 v11, v6, v11
	s_ashr_i32 s67, s49, 31
	v_add_nc_u32_e32 v12, v2, v7
	v_add_nc_u32_e32 v13, v3, v8
	s_lshl_b64 s[48:49], s[38:39], 3
	v_add_nc_u32_e32 v14, v4, v9
	s_lshl_b64 s[50:51], s[2:3], 3
	v_add_nc_u32_e32 v15, v5, v10
	v_add_nc_u32_e32 v16, v6, v11
	s_lshl_b64 s[52:53], s[52:53], 3
	s_branch .LBB2_3
.LBB2_2:                                ;   in Loop: Header=BB2_3 Depth=1
	v_mul_lo_u32 v6, v20, s35
	s_waitcnt lgkmcnt(0)
	v_mul_lo_u32 v2, s4, v2
	v_mul_lo_u32 v8, s5, v19
	;; [unrolled: 1-line block ×3, first 2 shown]
	v_add_co_u32 v0, vcc_lo, v0, s63
	v_add_co_ci_u32_e64 v1, null, 0, v1, vcc_lo
	v_ashrrev_i32_e32 v7, 31, v6
	v_ashrrev_i32_e32 v3, 31, v2
	;; [unrolled: 1-line block ×3, first 2 shown]
	v_mul_lo_u32 v17, s7, v17
	v_ashrrev_i32_e32 v11, 31, v10
	v_lshlrev_b64 v[6:7], 3, v[6:7]
	v_lshlrev_b64 v[2:3], 3, v[2:3]
	v_ashrrev_i32_e32 v18, 31, v17
	v_add_co_u32 v19, vcc_lo, s44, v6
	v_add_co_ci_u32_e64 v20, null, s45, v7, vcc_lo
	v_lshlrev_b64 v[6:7], 3, v[8:9]
	v_add_co_u32 v8, vcc_lo, v19, v2
	v_add_co_ci_u32_e64 v9, null, v20, v3, vcc_lo
	v_lshlrev_b64 v[2:3], 3, v[10:11]
	;; [unrolled: 3-line block ×3, first 2 shown]
	v_add_co_u32 v2, vcc_lo, v8, v2
	v_add_co_ci_u32_e64 v3, null, v9, v3, vcc_lo
	v_cmp_le_i64_e32 vcc_lo, s[36:37], v[0:1]
	v_add_co_u32 v2, s0, v2, v6
	v_add_co_ci_u32_e64 v3, null, v3, v7, s0
	s_or_b32 s59, vcc_lo, s59
	global_store_dwordx2 v[2:3], v[4:5], off
	s_andn2_b32 exec_lo, exec_lo, s59
	s_cbranch_execz .LBB2_17
.LBB2_3:                                ; =>This Loop Header: Depth=1
                                        ;     Child Loop BB2_6 Depth 2
                                        ;       Child Loop BB2_9 Depth 3
                                        ;         Child Loop BB2_12 Depth 4
	v_sub_nc_u32_e32 v2, 0, v0
	v_max_i32_e32 v2, v0, v2
	v_mul_hi_u32 v3, v2, v12
	v_mul_lo_u32 v4, v3, s57
	v_sub_nc_u32_e32 v2, v2, v4
	v_add_nc_u32_e32 v4, 1, v3
	v_subrev_nc_u32_e32 v5, s57, v2
	v_cmp_le_u32_e32 vcc_lo, s57, v2
	v_cndmask_b32_e32 v3, v3, v4, vcc_lo
	v_cndmask_b32_e32 v2, v2, v5, vcc_lo
	v_ashrrev_i32_e32 v4, 31, v0
	v_add_nc_u32_e32 v5, 1, v3
	v_cmp_le_u32_e32 vcc_lo, s57, v2
	v_xor_b32_e32 v4, s64, v4
	v_cndmask_b32_e32 v2, v3, v5, vcc_lo
	v_xor_b32_e32 v2, v2, v4
	v_sub_nc_u32_e32 v3, v2, v4
	v_sub_nc_u32_e32 v2, 0, v3
	v_max_i32_e32 v2, v3, v2
	v_mul_hi_u32 v4, v2, v13
	v_mul_lo_u32 v5, v4, s58
	v_sub_nc_u32_e32 v2, v2, v5
	v_add_nc_u32_e32 v5, 1, v4
	v_subrev_nc_u32_e32 v6, s58, v2
	v_cmp_le_u32_e32 vcc_lo, s58, v2
	v_cndmask_b32_e32 v4, v4, v5, vcc_lo
	v_cndmask_b32_e32 v2, v2, v6, vcc_lo
	v_ashrrev_i32_e32 v5, 31, v3
	v_add_nc_u32_e32 v6, 1, v4
	v_cmp_le_u32_e32 vcc_lo, s58, v2
	v_xor_b32_e32 v5, s65, v5
	v_cndmask_b32_e32 v2, v4, v6, vcc_lo
	v_xor_b32_e32 v2, v2, v5
	v_sub_nc_u32_e32 v4, v2, v5
	;; [unrolled: 17-line block ×3, first 2 shown]
	v_sub_nc_u32_e32 v5, 0, v2
	v_max_i32_e32 v5, v2, v5
	v_mul_hi_u32 v6, v5, v15
	v_mul_lo_u32 v7, v6, s16
	v_sub_nc_u32_e32 v5, v5, v7
	v_add_nc_u32_e32 v7, 1, v6
	v_subrev_nc_u32_e32 v8, s16, v5
	v_cmp_le_u32_e32 vcc_lo, s16, v5
	v_cndmask_b32_e32 v6, v6, v7, vcc_lo
	v_cndmask_b32_e32 v5, v5, v8, vcc_lo
	v_ashrrev_i32_e32 v7, 31, v2
	v_add_nc_u32_e32 v8, 1, v6
	v_cmp_le_u32_e32 vcc_lo, s16, v5
	v_xor_b32_e32 v7, s20, v7
	v_cndmask_b32_e32 v5, v6, v8, vcc_lo
	v_mul_lo_u32 v6, v3, s34
	v_mul_lo_u32 v8, v2, s22
	s_andn2_b32 vcc_lo, exec_lo, s33
	v_xor_b32_e32 v5, v5, v7
	v_sub_nc_u32_e32 v17, v0, v6
	v_sub_nc_u32_e32 v20, v5, v7
	v_mul_lo_u32 v7, v4, s23
	v_sub_nc_u32_e32 v19, v4, v8
	v_mul_lo_u32 v5, v20, s21
	v_sub_nc_u32_e32 v18, v3, v7
	v_sub_nc_u32_e32 v2, v2, v5
	v_ashrrev_i32_e32 v3, 31, v2
	s_cbranch_vccnz .LBB2_14
; %bb.4:                                ;   in Loop: Header=BB2_3 Depth=1
	v_sub_nc_u32_e32 v4, 0, v2
	v_mul_lo_u32 v8, s28, v20
	v_mul_lo_u32 v11, v17, s10
	;; [unrolled: 1-line block ×3, first 2 shown]
	s_mov_b32 s3, 0
	v_max_i32_e32 v4, v2, v4
	v_ashrrev_i32_e32 v9, 31, v8
	v_mul_hi_u32 v5, v4, v16
	v_subrev_nc_u32_e32 v21, s13, v11
	v_ashrrev_i32_e32 v11, 31, v10
	v_lshlrev_b64 v[8:9], 3, v[8:9]
	v_mul_lo_u32 v28, s62, v21
	v_lshlrev_b64 v[10:11], 3, v[10:11]
	v_mul_lo_u32 v6, v5, s61
	v_ashrrev_i32_e32 v29, 31, v28
	v_sub_nc_u32_e32 v4, v4, v6
	v_add_nc_u32_e32 v6, 1, v5
	v_subrev_nc_u32_e32 v7, s61, v4
	v_cmp_le_u32_e32 vcc_lo, s61, v4
	v_cndmask_b32_e32 v5, v5, v6, vcc_lo
	v_cndmask_b32_e32 v4, v4, v7, vcc_lo
	v_xor_b32_e32 v7, s67, v3
	v_add_nc_u32_e32 v6, 1, v5
	v_cmp_le_u32_e32 vcc_lo, s61, v4
	v_cndmask_b32_e32 v4, v5, v6, vcc_lo
	v_mul_lo_u32 v5, v19, s8
	v_add_co_u32 v30, vcc_lo, s42, v8
	v_add_co_ci_u32_e64 v31, null, s43, v9, vcc_lo
	v_xor_b32_e32 v4, v4, v7
	v_subrev_nc_u32_e32 v6, s11, v5
	v_sub_nc_u32_e32 v4, v4, v7
	v_mul_lo_u32 v7, v18, s9
	v_mul_lo_u32 v24, s30, v6
	;; [unrolled: 1-line block ×3, first 2 shown]
	v_mov_b32_e32 v4, 0
	v_mov_b32_e32 v5, 0
	v_subrev_nc_u32_e32 v7, s12, v7
	v_ashrrev_i32_e32 v25, 31, v24
	v_ashrrev_i32_e32 v23, 31, v22
	v_mul_lo_u32 v26, s31, v7
	v_lshlrev_b64 v[8:9], 3, v[24:25]
	v_lshlrev_b64 v[22:23], 3, v[22:23]
	v_ashrrev_i32_e32 v27, 31, v26
	v_add_co_u32 v24, vcc_lo, v30, v22
	v_add_co_ci_u32_e64 v25, null, v31, v23, vcc_lo
	v_lshlrev_b64 v[22:23], 3, v[26:27]
	v_add_co_u32 v24, vcc_lo, v24, v8
	v_add_co_ci_u32_e64 v25, null, v25, v9, vcc_lo
	v_lshlrev_b64 v[8:9], 3, v[28:29]
	v_add_co_u32 v22, vcc_lo, v24, v22
	v_add_co_ci_u32_e64 v23, null, v25, v23, vcc_lo
	v_add_co_u32 v8, vcc_lo, v22, v8
	v_add_co_ci_u32_e64 v9, null, v23, v9, vcc_lo
	s_waitcnt lgkmcnt(0)
	v_add_co_u32 v10, vcc_lo, s46, v10
	v_add_co_ci_u32_e64 v11, null, s47, v11, vcc_lo
	s_branch .LBB2_6
.LBB2_5:                                ;   in Loop: Header=BB2_6 Depth=2
	s_inst_prefetch 0x2
	v_add_co_u32 v8, vcc_lo, v8, s52
	v_add_co_ci_u32_e64 v9, null, s53, v9, vcc_lo
	s_add_i32 s3, s3, 1
	s_cmp_eq_u32 s3, s24
	s_cbranch_scc1 .LBB2_15
.LBB2_6:                                ;   Parent Loop BB2_3 Depth=1
                                        ; =>  This Loop Header: Depth=2
                                        ;       Child Loop BB2_9 Depth 3
                                        ;         Child Loop BB2_12 Depth 4
	s_andn2_b32 vcc_lo, exec_lo, s54
	s_cbranch_vccnz .LBB2_5
; %bb.7:                                ;   in Loop: Header=BB2_6 Depth=2
	v_mad_u64_u32 v[22:23], null, s3, s14, v[6:7]
	s_mov_b32 s39, 0
	v_cmp_lt_i32_e64 s0, -1, v22
	v_cmp_gt_i32_e64 s1, s17, v22
	s_inst_prefetch 0x1
	s_branch .LBB2_9
	.p2align	6
.LBB2_8:                                ;   in Loop: Header=BB2_9 Depth=3
	v_add_co_u32 v8, vcc_lo, v8, s50
	v_add_co_ci_u32_e64 v9, null, s51, v9, vcc_lo
	s_add_i32 s39, s39, 1
	s_cmp_eq_u32 s39, s25
	s_cbranch_scc1 .LBB2_5
.LBB2_9:                                ;   Parent Loop BB2_3 Depth=1
                                        ;     Parent Loop BB2_6 Depth=2
                                        ; =>    This Loop Header: Depth=3
                                        ;         Child Loop BB2_12 Depth 4
	s_andn2_b32 vcc_lo, exec_lo, s55
	s_cbranch_vccnz .LBB2_8
; %bb.10:                               ;   in Loop: Header=BB2_9 Depth=3
	v_mad_u64_u32 v[23:24], null, s39, s15, v[7:8]
	v_mov_b32_e32 v22, v21
	s_mov_b32 s69, s26
	v_cmp_lt_i32_e64 s2, -1, v23
	v_cmp_gt_i32_e32 vcc_lo, s18, v23
	s_and_b32 s68, s0, s2
	s_branch .LBB2_12
	.p2align	6
.LBB2_11:                               ;   in Loop: Header=BB2_12 Depth=4
	s_or_b32 exec_lo, exec_lo, s2
	v_add_co_u32 v10, s2, v10, 8
	v_add_co_ci_u32_e64 v11, null, 0, v11, s2
	v_add_co_u32 v8, s2, v8, s48
	v_add_nc_u32_e32 v22, s38, v22
	v_add_co_ci_u32_e64 v9, null, s49, v9, s2
	s_add_i32 s69, s69, -1
	s_cmp_eq_u32 s69, 0
	s_cbranch_scc1 .LBB2_8
.LBB2_12:                               ;   Parent Loop BB2_3 Depth=1
                                        ;     Parent Loop BB2_6 Depth=2
                                        ;       Parent Loop BB2_9 Depth=3
                                        ; =>      This Inner Loop Header: Depth=4
	v_cmp_lt_i32_e64 s2, -1, v22
	s_and_b32 s70, s68, s2
	v_cmp_gt_i32_e64 s2, s19, v22
	s_and_b32 s70, s70, s1
	s_and_b32 s70, s70, vcc_lo
	s_and_b32 s70, s70, s2
	s_and_saveexec_b32 s2, s70
	s_cbranch_execz .LBB2_11
; %bb.13:                               ;   in Loop: Header=BB2_12 Depth=4
	global_load_dwordx2 v[23:24], v[10:11], off
	global_load_dwordx2 v[25:26], v[8:9], off
	s_waitcnt vmcnt(0)
	v_fma_f64 v[4:5], v[23:24], v[25:26], v[4:5]
	s_branch .LBB2_11
.LBB2_14:                               ;   in Loop: Header=BB2_3 Depth=1
	v_mov_b32_e32 v4, 0
	v_mov_b32_e32 v5, 0
.LBB2_15:                               ;   in Loop: Header=BB2_3 Depth=1
	s_and_b32 vcc_lo, exec_lo, s56
	s_cbranch_vccz .LBB2_2
; %bb.16:                               ;   in Loop: Header=BB2_3 Depth=1
	v_lshlrev_b64 v[6:7], 3, v[2:3]
	v_add_co_u32 v6, vcc_lo, s40, v6
	v_add_co_ci_u32_e64 v7, null, s41, v7, vcc_lo
	global_load_dwordx2 v[6:7], v[6:7], off
	s_waitcnt vmcnt(0)
	v_add_f64 v[4:5], v[4:5], v[6:7]
	s_branch .LBB2_2
.LBB2_17:
	s_endpgm
	.section	.rodata,"a",@progbits
	.p2align	6, 0x0
	.amdhsa_kernel _ZN2at6native12_GLOBAL__N_128conv_depthwise3d_cuda_kernelIddLin1ELin1ELin1ELin1ELin1ELin1EEEvN5torch10headeronly6detail27GenericPackedTensorAccessorINS5_14TensorAccessorIN3c108ArrayRefIlEEKT_Lm4ENS4_16DefaultPtrTraitsEiEENS_6detail16IndexBoundsCheckILm5EiEESC_Lm5ESD_iEENS6_INS7_ISA_SB_Lm4ESD_iEESH_SB_Lm5ESD_iEESI_PSC_iiiiiiiii
		.amdhsa_group_segment_fixed_size 0
		.amdhsa_private_segment_fixed_size 0
		.amdhsa_kernarg_size 448
		.amdhsa_user_sgpr_count 6
		.amdhsa_user_sgpr_private_segment_buffer 1
		.amdhsa_user_sgpr_dispatch_ptr 0
		.amdhsa_user_sgpr_queue_ptr 0
		.amdhsa_user_sgpr_kernarg_segment_ptr 1
		.amdhsa_user_sgpr_dispatch_id 0
		.amdhsa_user_sgpr_flat_scratch_init 0
		.amdhsa_user_sgpr_private_segment_size 0
		.amdhsa_wavefront_size32 1
		.amdhsa_uses_dynamic_stack 0
		.amdhsa_system_sgpr_private_segment_wavefront_offset 0
		.amdhsa_system_sgpr_workgroup_id_x 1
		.amdhsa_system_sgpr_workgroup_id_y 0
		.amdhsa_system_sgpr_workgroup_id_z 0
		.amdhsa_system_sgpr_workgroup_info 0
		.amdhsa_system_vgpr_workitem_id 0
		.amdhsa_next_free_vgpr 32
		.amdhsa_next_free_sgpr 71
		.amdhsa_reserve_vcc 1
		.amdhsa_reserve_flat_scratch 0
		.amdhsa_float_round_mode_32 0
		.amdhsa_float_round_mode_16_64 0
		.amdhsa_float_denorm_mode_32 3
		.amdhsa_float_denorm_mode_16_64 3
		.amdhsa_dx10_clamp 1
		.amdhsa_ieee_mode 1
		.amdhsa_fp16_overflow 0
		.amdhsa_workgroup_processor_mode 1
		.amdhsa_memory_ordered 1
		.amdhsa_forward_progress 1
		.amdhsa_shared_vgpr_count 0
		.amdhsa_exception_fp_ieee_invalid_op 0
		.amdhsa_exception_fp_denorm_src 0
		.amdhsa_exception_fp_ieee_div_zero 0
		.amdhsa_exception_fp_ieee_overflow 0
		.amdhsa_exception_fp_ieee_underflow 0
		.amdhsa_exception_fp_ieee_inexact 0
		.amdhsa_exception_int_div_zero 0
	.end_amdhsa_kernel
	.section	.text._ZN2at6native12_GLOBAL__N_128conv_depthwise3d_cuda_kernelIddLin1ELin1ELin1ELin1ELin1ELin1EEEvN5torch10headeronly6detail27GenericPackedTensorAccessorINS5_14TensorAccessorIN3c108ArrayRefIlEEKT_Lm4ENS4_16DefaultPtrTraitsEiEENS_6detail16IndexBoundsCheckILm5EiEESC_Lm5ESD_iEENS6_INS7_ISA_SB_Lm4ESD_iEESH_SB_Lm5ESD_iEESI_PSC_iiiiiiiii,"axG",@progbits,_ZN2at6native12_GLOBAL__N_128conv_depthwise3d_cuda_kernelIddLin1ELin1ELin1ELin1ELin1ELin1EEEvN5torch10headeronly6detail27GenericPackedTensorAccessorINS5_14TensorAccessorIN3c108ArrayRefIlEEKT_Lm4ENS4_16DefaultPtrTraitsEiEENS_6detail16IndexBoundsCheckILm5EiEESC_Lm5ESD_iEENS6_INS7_ISA_SB_Lm4ESD_iEESH_SB_Lm5ESD_iEESI_PSC_iiiiiiiii,comdat
.Lfunc_end2:
	.size	_ZN2at6native12_GLOBAL__N_128conv_depthwise3d_cuda_kernelIddLin1ELin1ELin1ELin1ELin1ELin1EEEvN5torch10headeronly6detail27GenericPackedTensorAccessorINS5_14TensorAccessorIN3c108ArrayRefIlEEKT_Lm4ENS4_16DefaultPtrTraitsEiEENS_6detail16IndexBoundsCheckILm5EiEESC_Lm5ESD_iEENS6_INS7_ISA_SB_Lm4ESD_iEESH_SB_Lm5ESD_iEESI_PSC_iiiiiiiii, .Lfunc_end2-_ZN2at6native12_GLOBAL__N_128conv_depthwise3d_cuda_kernelIddLin1ELin1ELin1ELin1ELin1ELin1EEEvN5torch10headeronly6detail27GenericPackedTensorAccessorINS5_14TensorAccessorIN3c108ArrayRefIlEEKT_Lm4ENS4_16DefaultPtrTraitsEiEENS_6detail16IndexBoundsCheckILm5EiEESC_Lm5ESD_iEENS6_INS7_ISA_SB_Lm4ESD_iEESH_SB_Lm5ESD_iEESI_PSC_iiiiiiiii
                                        ; -- End function
	.set _ZN2at6native12_GLOBAL__N_128conv_depthwise3d_cuda_kernelIddLin1ELin1ELin1ELin1ELin1ELin1EEEvN5torch10headeronly6detail27GenericPackedTensorAccessorINS5_14TensorAccessorIN3c108ArrayRefIlEEKT_Lm4ENS4_16DefaultPtrTraitsEiEENS_6detail16IndexBoundsCheckILm5EiEESC_Lm5ESD_iEENS6_INS7_ISA_SB_Lm4ESD_iEESH_SB_Lm5ESD_iEESI_PSC_iiiiiiiii.num_vgpr, 32
	.set _ZN2at6native12_GLOBAL__N_128conv_depthwise3d_cuda_kernelIddLin1ELin1ELin1ELin1ELin1ELin1EEEvN5torch10headeronly6detail27GenericPackedTensorAccessorINS5_14TensorAccessorIN3c108ArrayRefIlEEKT_Lm4ENS4_16DefaultPtrTraitsEiEENS_6detail16IndexBoundsCheckILm5EiEESC_Lm5ESD_iEENS6_INS7_ISA_SB_Lm4ESD_iEESH_SB_Lm5ESD_iEESI_PSC_iiiiiiiii.num_agpr, 0
	.set _ZN2at6native12_GLOBAL__N_128conv_depthwise3d_cuda_kernelIddLin1ELin1ELin1ELin1ELin1ELin1EEEvN5torch10headeronly6detail27GenericPackedTensorAccessorINS5_14TensorAccessorIN3c108ArrayRefIlEEKT_Lm4ENS4_16DefaultPtrTraitsEiEENS_6detail16IndexBoundsCheckILm5EiEESC_Lm5ESD_iEENS6_INS7_ISA_SB_Lm4ESD_iEESH_SB_Lm5ESD_iEESI_PSC_iiiiiiiii.numbered_sgpr, 71
	.set _ZN2at6native12_GLOBAL__N_128conv_depthwise3d_cuda_kernelIddLin1ELin1ELin1ELin1ELin1ELin1EEEvN5torch10headeronly6detail27GenericPackedTensorAccessorINS5_14TensorAccessorIN3c108ArrayRefIlEEKT_Lm4ENS4_16DefaultPtrTraitsEiEENS_6detail16IndexBoundsCheckILm5EiEESC_Lm5ESD_iEENS6_INS7_ISA_SB_Lm4ESD_iEESH_SB_Lm5ESD_iEESI_PSC_iiiiiiiii.num_named_barrier, 0
	.set _ZN2at6native12_GLOBAL__N_128conv_depthwise3d_cuda_kernelIddLin1ELin1ELin1ELin1ELin1ELin1EEEvN5torch10headeronly6detail27GenericPackedTensorAccessorINS5_14TensorAccessorIN3c108ArrayRefIlEEKT_Lm4ENS4_16DefaultPtrTraitsEiEENS_6detail16IndexBoundsCheckILm5EiEESC_Lm5ESD_iEENS6_INS7_ISA_SB_Lm4ESD_iEESH_SB_Lm5ESD_iEESI_PSC_iiiiiiiii.private_seg_size, 0
	.set _ZN2at6native12_GLOBAL__N_128conv_depthwise3d_cuda_kernelIddLin1ELin1ELin1ELin1ELin1ELin1EEEvN5torch10headeronly6detail27GenericPackedTensorAccessorINS5_14TensorAccessorIN3c108ArrayRefIlEEKT_Lm4ENS4_16DefaultPtrTraitsEiEENS_6detail16IndexBoundsCheckILm5EiEESC_Lm5ESD_iEENS6_INS7_ISA_SB_Lm4ESD_iEESH_SB_Lm5ESD_iEESI_PSC_iiiiiiiii.uses_vcc, 1
	.set _ZN2at6native12_GLOBAL__N_128conv_depthwise3d_cuda_kernelIddLin1ELin1ELin1ELin1ELin1ELin1EEEvN5torch10headeronly6detail27GenericPackedTensorAccessorINS5_14TensorAccessorIN3c108ArrayRefIlEEKT_Lm4ENS4_16DefaultPtrTraitsEiEENS_6detail16IndexBoundsCheckILm5EiEESC_Lm5ESD_iEENS6_INS7_ISA_SB_Lm4ESD_iEESH_SB_Lm5ESD_iEESI_PSC_iiiiiiiii.uses_flat_scratch, 0
	.set _ZN2at6native12_GLOBAL__N_128conv_depthwise3d_cuda_kernelIddLin1ELin1ELin1ELin1ELin1ELin1EEEvN5torch10headeronly6detail27GenericPackedTensorAccessorINS5_14TensorAccessorIN3c108ArrayRefIlEEKT_Lm4ENS4_16DefaultPtrTraitsEiEENS_6detail16IndexBoundsCheckILm5EiEESC_Lm5ESD_iEENS6_INS7_ISA_SB_Lm4ESD_iEESH_SB_Lm5ESD_iEESI_PSC_iiiiiiiii.has_dyn_sized_stack, 0
	.set _ZN2at6native12_GLOBAL__N_128conv_depthwise3d_cuda_kernelIddLin1ELin1ELin1ELin1ELin1ELin1EEEvN5torch10headeronly6detail27GenericPackedTensorAccessorINS5_14TensorAccessorIN3c108ArrayRefIlEEKT_Lm4ENS4_16DefaultPtrTraitsEiEENS_6detail16IndexBoundsCheckILm5EiEESC_Lm5ESD_iEENS6_INS7_ISA_SB_Lm4ESD_iEESH_SB_Lm5ESD_iEESI_PSC_iiiiiiiii.has_recursion, 0
	.set _ZN2at6native12_GLOBAL__N_128conv_depthwise3d_cuda_kernelIddLin1ELin1ELin1ELin1ELin1ELin1EEEvN5torch10headeronly6detail27GenericPackedTensorAccessorINS5_14TensorAccessorIN3c108ArrayRefIlEEKT_Lm4ENS4_16DefaultPtrTraitsEiEENS_6detail16IndexBoundsCheckILm5EiEESC_Lm5ESD_iEENS6_INS7_ISA_SB_Lm4ESD_iEESH_SB_Lm5ESD_iEESI_PSC_iiiiiiiii.has_indirect_call, 0
	.section	.AMDGPU.csdata,"",@progbits
; Kernel info:
; codeLenInByte = 2048
; TotalNumSgprs: 73
; NumVgprs: 32
; ScratchSize: 0
; MemoryBound: 1
; FloatMode: 240
; IeeeMode: 1
; LDSByteSize: 0 bytes/workgroup (compile time only)
; SGPRBlocks: 0
; VGPRBlocks: 3
; NumSGPRsForWavesPerEU: 73
; NumVGPRsForWavesPerEU: 32
; Occupancy: 16
; WaveLimiterHint : 0
; COMPUTE_PGM_RSRC2:SCRATCH_EN: 0
; COMPUTE_PGM_RSRC2:USER_SGPR: 6
; COMPUTE_PGM_RSRC2:TRAP_HANDLER: 0
; COMPUTE_PGM_RSRC2:TGID_X_EN: 1
; COMPUTE_PGM_RSRC2:TGID_Y_EN: 0
; COMPUTE_PGM_RSRC2:TGID_Z_EN: 0
; COMPUTE_PGM_RSRC2:TIDIG_COMP_CNT: 0
	.section	.text._ZN2at6native12_GLOBAL__N_128conv_depthwise3d_cuda_kernelIffLi3ELi3ELi3ELi1ELi1ELi1EEEvN5torch10headeronly6detail27GenericPackedTensorAccessorINS5_14TensorAccessorIN3c108ArrayRefIlEEKT_Lm4ENS4_16DefaultPtrTraitsEiEENS_6detail16IndexBoundsCheckILm5EiEESC_Lm5ESD_iEENS6_INS7_ISA_SB_Lm4ESD_iEESH_SB_Lm5ESD_iEESI_PSC_iiiiiiiii,"axG",@progbits,_ZN2at6native12_GLOBAL__N_128conv_depthwise3d_cuda_kernelIffLi3ELi3ELi3ELi1ELi1ELi1EEEvN5torch10headeronly6detail27GenericPackedTensorAccessorINS5_14TensorAccessorIN3c108ArrayRefIlEEKT_Lm4ENS4_16DefaultPtrTraitsEiEENS_6detail16IndexBoundsCheckILm5EiEESC_Lm5ESD_iEENS6_INS7_ISA_SB_Lm4ESD_iEESH_SB_Lm5ESD_iEESI_PSC_iiiiiiiii,comdat
	.globl	_ZN2at6native12_GLOBAL__N_128conv_depthwise3d_cuda_kernelIffLi3ELi3ELi3ELi1ELi1ELi1EEEvN5torch10headeronly6detail27GenericPackedTensorAccessorINS5_14TensorAccessorIN3c108ArrayRefIlEEKT_Lm4ENS4_16DefaultPtrTraitsEiEENS_6detail16IndexBoundsCheckILm5EiEESC_Lm5ESD_iEENS6_INS7_ISA_SB_Lm4ESD_iEESH_SB_Lm5ESD_iEESI_PSC_iiiiiiiii ; -- Begin function _ZN2at6native12_GLOBAL__N_128conv_depthwise3d_cuda_kernelIffLi3ELi3ELi3ELi1ELi1ELi1EEEvN5torch10headeronly6detail27GenericPackedTensorAccessorINS5_14TensorAccessorIN3c108ArrayRefIlEEKT_Lm4ENS4_16DefaultPtrTraitsEiEENS_6detail16IndexBoundsCheckILm5EiEESC_Lm5ESD_iEENS6_INS7_ISA_SB_Lm4ESD_iEESH_SB_Lm5ESD_iEESI_PSC_iiiiiiiii
	.p2align	8
	.type	_ZN2at6native12_GLOBAL__N_128conv_depthwise3d_cuda_kernelIffLi3ELi3ELi3ELi1ELi1ELi1EEEvN5torch10headeronly6detail27GenericPackedTensorAccessorINS5_14TensorAccessorIN3c108ArrayRefIlEEKT_Lm4ENS4_16DefaultPtrTraitsEiEENS_6detail16IndexBoundsCheckILm5EiEESC_Lm5ESD_iEENS6_INS7_ISA_SB_Lm4ESD_iEESH_SB_Lm5ESD_iEESI_PSC_iiiiiiiii,@function
_ZN2at6native12_GLOBAL__N_128conv_depthwise3d_cuda_kernelIffLi3ELi3ELi3ELi1ELi1ELi1EEEvN5torch10headeronly6detail27GenericPackedTensorAccessorINS5_14TensorAccessorIN3c108ArrayRefIlEEKT_Lm4ENS4_16DefaultPtrTraitsEiEENS_6detail16IndexBoundsCheckILm5EiEESC_Lm5ESD_iEENS6_INS7_ISA_SB_Lm4ESD_iEESH_SB_Lm5ESD_iEESI_PSC_iiiiiiiii: ; @_ZN2at6native12_GLOBAL__N_128conv_depthwise3d_cuda_kernelIffLi3ELi3ELi3ELi1ELi1ELi1EEEvN5torch10headeronly6detail27GenericPackedTensorAccessorINS5_14TensorAccessorIN3c108ArrayRefIlEEKT_Lm4ENS4_16DefaultPtrTraitsEiEENS_6detail16IndexBoundsCheckILm5EiEESC_Lm5ESD_iEENS6_INS7_ISA_SB_Lm4ESD_iEESH_SB_Lm5ESD_iEESI_PSC_iiiiiiiii
; %bb.0:
	s_clause 0x3
	s_load_dwordx4 s[16:19], s[4:5], 0xc
	s_load_dwordx2 s[14:15], s[4:5], 0x48
	s_load_dword s3, s[4:5], 0xcc
	s_load_dwordx4 s[20:23], s[4:5], 0x38
	v_mov_b32_e32 v7, 0
	s_waitcnt lgkmcnt(0)
	s_abs_i32 s2, s16
	s_add_u32 s0, s4, 0xc0
	v_cvt_f32_u32_e32 v1, s2
	s_addc_u32 s1, s5, 0
	s_and_b32 s8, s3, 0xffff
	s_mul_i32 s34, s15, s20
	s_mul_i32 s33, s8, s6
	v_rcp_iflag_f32_e32 v1, v1
	s_mul_hi_u32 s20, s8, s6
	s_ashr_i32 s35, s34, 31
	s_mov_b32 s6, exec_lo
	v_mul_f32_e32 v3, 0x4f7ffffe, v1
	v_add_co_u32 v1, s3, s33, v0
	v_add_co_ci_u32_e64 v2, null, s20, 0, s3
	v_cvt_u32_f32_e32 v3, v3
	v_readfirstlane_b32 s3, v3
	v_cmpx_gt_i64_e64 s[34:35], v[1:2]
	s_cbranch_execz .LBB3_59
; %bb.1:
	s_sub_i32 s6, 0, s2
	s_abs_i32 s55, s21
	s_mul_i32 s6, s6, s3
	s_load_dwordx2 s[40:41], s[4:5], 0x90
	s_mul_hi_u32 s6, s3, s6
	s_ashr_i32 s54, s21, 31
	s_add_i32 s3, s3, s6
	s_ashr_i32 s6, s16, 31
	s_mul_hi_u32 s3, s55, s3
	s_xor_b32 s9, s54, s6
	s_mul_i32 s7, s3, s2
	s_load_dword s16, s[4:5], 0x7c
	s_sub_i32 s6, s55, s7
	s_add_i32 s7, s3, 1
	s_sub_i32 s10, s6, s2
	s_cmp_ge_u32 s6, s2
	v_cvt_f32_u32_e32 v4, s55
	s_cselect_b32 s3, s7, s3
	s_cselect_b32 s6, s10, s6
	s_add_i32 s7, s3, 1
	s_cmp_ge_u32 s6, s2
	v_rcp_iflag_f32_e32 v4, v4
	s_cselect_b32 s2, s7, s3
	s_add_i32 s6, s18, -3
	s_xor_b32 s2, s2, s9
	s_mul_i32 s6, s19, s6
	s_ashr_i32 s3, s19, 31
	s_sub_i32 s9, s2, s9
	s_ashr_i32 s7, s6, 31
	s_waitcnt lgkmcnt(0)
	s_cmp_lg_u64 s[40:41], 0
	s_clause 0x1
	s_load_dwordx4 s[24:27], s[4:5], 0x98
	s_load_dwordx2 s[42:43], s[4:5], 0xa8
	s_cselect_b32 s56, -1, 0
	s_abs_i32 s57, s14
	s_abs_i32 s58, s23
	v_cvt_f32_u32_e32 v1, s57
	v_cvt_f32_u32_e32 v2, s58
	s_abs_i32 s60, s22
	s_abs_i32 s61, s9
	v_cvt_f32_u32_e32 v3, s60
	v_rcp_iflag_f32_e32 v1, v1
	v_cvt_f32_u32_e32 v5, s61
	v_rcp_iflag_f32_e32 v2, v2
	v_mul_f32_e32 v4, 0x4f7ffffe, v4
	v_rcp_iflag_f32_e32 v3, v3
	s_load_dword s0, s[0:1], 0x0
	v_rcp_iflag_f32_e32 v5, v5
	s_sub_i32 s1, 0, s57
	v_cvt_u32_f32_e32 v4, v4
	s_sub_i32 s2, 0, s61
	v_mul_f32_e32 v1, 0x4f7ffffe, v1
	s_clause 0x1
	s_load_dwordx2 s[44:45], s[4:5], 0x0
	s_load_dwordx4 s[28:31], s[4:5], 0x1c
	v_mul_f32_e32 v2, 0x4f7ffffe, v2
	s_clause 0x1
	s_load_dword s62, s[4:5], 0x2c
	s_load_dwordx2 s[46:47], s[4:5], 0x30
	v_mul_f32_e32 v3, 0x4f7ffffe, v3
	v_cvt_u32_f32_e32 v1, v1
	v_mul_f32_e32 v5, 0x4f7ffffe, v5
	v_cvt_u32_f32_e32 v2, v2
	s_clause 0x1
	s_load_dwordx2 s[48:49], s[4:5], 0x60
	s_load_dwordx4 s[36:39], s[4:5], 0x50
	v_cvt_u32_f32_e32 v3, v3
	v_mul_lo_u32 v6, s1, v1
	s_sub_i32 s1, 0, s58
	v_cvt_u32_f32_e32 v5, v5
	v_mul_lo_u32 v8, s1, v2
	s_sub_i32 s1, 0, s60
	s_mov_b32 s59, 0
	v_mul_lo_u32 v9, s1, v3
	s_sub_i32 s1, 0, s55
	v_mul_lo_u32 v11, s2, v5
	v_mul_lo_u32 v10, s1, v4
	v_mul_hi_u32 v6, v1, v6
	v_mul_hi_u32 v12, v2, v8
	s_mov_b32 s2, s19
	s_waitcnt lgkmcnt(0)
	s_mul_i32 s63, s0, s8
	v_mul_hi_u32 v13, v3, v9
	s_ashr_i32 s64, s14, 31
	v_mul_hi_u32 v15, v5, v11
	v_mul_hi_u32 v14, v4, v10
	v_add_nc_u32_e32 v8, v1, v6
	v_add_nc_u32_e32 v9, v2, v12
	s_ashr_i32 s65, s23, 31
	s_ashr_i32 s66, s22, 31
	v_add_nc_u32_e32 v10, v3, v13
	s_ashr_i32 s67, s9, 31
	v_add_nc_u32_e32 v12, v5, v15
	v_add_nc_u32_e32 v11, v4, v14
	s_lshl_b64 s[50:51], s[2:3], 2
	s_lshl_b64 s[52:53], s[6:7], 2
	s_branch .LBB3_3
.LBB3_2:                                ;   in Loop: Header=BB3_3 Depth=1
	v_mul_lo_u32 v2, v14, s15
	v_mul_lo_u32 v4, s36, v1
	;; [unrolled: 1-line block ×4, first 2 shown]
	v_add_co_u32 v0, vcc_lo, v0, s63
	v_add_co_ci_u32_e64 v7, null, 0, v7, vcc_lo
	v_ashrrev_i32_e32 v3, 31, v2
	v_ashrrev_i32_e32 v5, 31, v4
	v_mul_lo_u32 v18, s39, v13
	v_ashrrev_i32_e32 v15, 31, v14
	v_lshlrev_b64 v[20:21], 2, v[2:3]
	v_ashrrev_i32_e32 v2, 31, v1
	v_lshlrev_b64 v[3:4], 2, v[4:5]
	v_ashrrev_i32_e32 v19, 31, v18
	v_add_co_u32 v5, vcc_lo, s46, v20
	v_add_co_ci_u32_e64 v6, null, s47, v21, vcc_lo
	v_lshlrev_b64 v[1:2], 2, v[1:2]
	v_add_co_u32 v5, vcc_lo, v5, v3
	v_add_co_ci_u32_e64 v6, null, v6, v4, vcc_lo
	v_lshlrev_b64 v[3:4], 2, v[14:15]
	v_add_co_u32 v13, vcc_lo, v5, v1
	v_add_co_ci_u32_e64 v14, null, v6, v2, vcc_lo
	v_add_co_u32 v5, vcc_lo, s33, v0
	v_lshlrev_b64 v[1:2], 2, v[18:19]
	v_add_co_ci_u32_e64 v6, null, s20, v7, vcc_lo
	v_add_co_u32 v3, vcc_lo, v13, v3
	v_add_co_ci_u32_e64 v4, null, v14, v4, vcc_lo
	v_cmp_le_i64_e32 vcc_lo, s[34:35], v[5:6]
	v_add_co_u32 v1, s0, v3, v1
	v_add_co_ci_u32_e64 v2, null, v4, v2, s0
	s_or_b32 s59, vcc_lo, s59
	global_store_dword v[1:2], v17, off
	s_andn2_b32 exec_lo, exec_lo, s59
	s_cbranch_execz .LBB3_59
.LBB3_3:                                ; =>This Inner Loop Header: Depth=1
	v_add_nc_u32_e32 v2, s33, v0
	v_sub_nc_u32_e32 v1, 0, v2
	v_max_i32_e32 v1, v2, v1
	v_mul_hi_u32 v3, v1, v8
	v_mul_lo_u32 v4, v3, s57
	v_sub_nc_u32_e32 v1, v1, v4
	v_add_nc_u32_e32 v4, 1, v3
	v_subrev_nc_u32_e32 v5, s57, v1
	v_cmp_le_u32_e32 vcc_lo, s57, v1
	v_cndmask_b32_e32 v3, v3, v4, vcc_lo
	v_cndmask_b32_e32 v1, v1, v5, vcc_lo
	v_ashrrev_i32_e32 v4, 31, v2
	v_add_nc_u32_e32 v5, 1, v3
	v_cmp_le_u32_e32 vcc_lo, s57, v1
	v_xor_b32_e32 v4, s64, v4
	v_cndmask_b32_e32 v1, v3, v5, vcc_lo
	v_xor_b32_e32 v1, v1, v4
	v_sub_nc_u32_e32 v4, v1, v4
	v_sub_nc_u32_e32 v1, 0, v4
	v_max_i32_e32 v1, v4, v1
	v_mul_hi_u32 v3, v1, v9
	v_mul_lo_u32 v5, v3, s58
	v_sub_nc_u32_e32 v1, v1, v5
	v_add_nc_u32_e32 v5, 1, v3
	v_subrev_nc_u32_e32 v6, s58, v1
	v_cmp_le_u32_e32 vcc_lo, s58, v1
	v_cndmask_b32_e32 v3, v3, v5, vcc_lo
	v_cndmask_b32_e32 v1, v1, v6, vcc_lo
	v_ashrrev_i32_e32 v5, 31, v4
	v_add_nc_u32_e32 v6, 1, v3
	v_cmp_le_u32_e32 vcc_lo, s58, v1
	v_xor_b32_e32 v5, s65, v5
	v_cndmask_b32_e32 v1, v3, v6, vcc_lo
	v_xor_b32_e32 v1, v1, v5
	v_sub_nc_u32_e32 v5, v1, v5
	v_sub_nc_u32_e32 v1, 0, v5
	v_mul_lo_u32 v15, v5, s23
	v_max_i32_e32 v1, v5, v1
	v_sub_nc_u32_e32 v15, v4, v15
	v_mul_hi_u32 v3, v1, v10
	v_mul_lo_u32 v18, v15, s25
	v_mul_lo_u32 v6, v3, s60
	v_sub_nc_u32_e32 v1, v1, v6
	v_add_nc_u32_e32 v6, 1, v3
	v_subrev_nc_u32_e32 v13, s60, v1
	v_cmp_le_u32_e32 vcc_lo, s60, v1
	v_cndmask_b32_e32 v3, v3, v6, vcc_lo
	v_cndmask_b32_e32 v1, v1, v13, vcc_lo
	v_ashrrev_i32_e32 v6, 31, v5
	v_add_nc_u32_e32 v13, 1, v3
	v_cmp_le_u32_e32 vcc_lo, s60, v1
	v_xor_b32_e32 v6, s66, v6
	v_cndmask_b32_e32 v1, v3, v13, vcc_lo
	v_xor_b32_e32 v1, v1, v6
	v_sub_nc_u32_e32 v6, v1, v6
	v_sub_nc_u32_e32 v1, 0, v6
	v_max_i32_e32 v1, v6, v1
	v_mul_hi_u32 v3, v1, v11
	v_mul_lo_u32 v13, v3, s55
	v_sub_nc_u32_e32 v1, v1, v13
	v_add_nc_u32_e32 v13, 1, v3
	v_subrev_nc_u32_e32 v14, s55, v1
	v_cmp_le_u32_e32 vcc_lo, s55, v1
	v_cndmask_b32_e32 v3, v3, v13, vcc_lo
	v_cndmask_b32_e32 v1, v1, v14, vcc_lo
	v_ashrrev_i32_e32 v13, 31, v6
	v_add_nc_u32_e32 v14, 1, v3
	v_cmp_le_u32_e32 vcc_lo, s55, v1
	v_xor_b32_e32 v13, s54, v13
	v_cndmask_b32_e32 v1, v3, v14, vcc_lo
	v_mul_lo_u32 v3, v4, s14
	v_xor_b32_e32 v1, v1, v13
	v_sub_nc_u32_e32 v14, v1, v13
	v_mul_lo_u32 v1, v14, s21
	v_sub_nc_u32_e32 v1, v6, v1
	v_mul_lo_u32 v6, v6, s22
	v_sub_nc_u32_e32 v13, 0, v1
	v_max_i32_e32 v16, v1, v13
	v_sub_nc_u32_e32 v13, v2, v3
	v_mul_hi_u32 v2, v16, v12
	v_mul_lo_u32 v3, v13, s26
	v_mul_lo_u32 v17, v2, s61
	v_add_nc_u32_e32 v4, 1, v2
	v_subrev_nc_u32_e32 v20, s43, v3
	v_mul_lo_u32 v3, s62, v20
	v_sub_nc_u32_e32 v17, v16, v17
	v_sub_nc_u32_e32 v16, v5, v6
	v_cmp_lt_i32_e64 s0, -1, v20
	v_subrev_nc_u32_e32 v19, s61, v17
	v_cmp_le_u32_e32 vcc_lo, s61, v17
	v_cndmask_b32_e32 v21, v2, v4, vcc_lo
	v_cndmask_b32_e32 v5, v17, v19, vcc_lo
	v_ashrrev_i32_e32 v2, 31, v1
	v_ashrrev_i32_e32 v4, 31, v3
	v_mul_lo_u32 v17, v16, s24
	v_add_nc_u32_e32 v6, 1, v21
	v_cmp_le_u32_e32 vcc_lo, s61, v5
	v_xor_b32_e32 v23, s67, v2
	v_subrev_nc_u32_e32 v19, s42, v18
	v_cndmask_b32_e32 v6, v21, v6, vcc_lo
	v_lshlrev_b64 v[21:22], 2, v[3:4]
	v_mul_lo_u32 v3, s28, v14
	v_subrev_nc_u32_e32 v18, s27, v17
	v_mul_lo_u32 v5, s31, v19
	v_xor_b32_e32 v24, v6, v23
	v_cmp_gt_i32_e64 s5, s18, v19
	v_cmp_gt_i32_e32 vcc_lo, s19, v20
	v_or_b32_e32 v17, v18, v19
	v_cmp_gt_i32_e64 s11, s17, v18
	v_sub_nc_u32_e32 v4, v24, v23
	v_mul_lo_u32 v23, s30, v18
	v_ashrrev_i32_e32 v6, 31, v5
	v_or_b32_e32 v27, v17, v20
	v_cmp_lt_i32_e64 s4, -1, v17
	v_mul_lo_u32 v25, s29, v4
	v_ashrrev_i32_e32 v4, 31, v3
	v_lshlrev_b64 v[5:6], 2, v[5:6]
	v_cmp_lt_i32_e64 s1, -1, v27
	v_ashrrev_i32_e32 v24, 31, v23
	v_mul_lo_u32 v27, s16, v1
	v_lshlrev_b64 v[3:4], 2, v[3:4]
	v_cmp_lt_i32_e64 s6, -1, v19
	v_ashrrev_i32_e32 v26, 31, v25
	v_lshlrev_b64 v[23:24], 2, v[23:24]
	v_cmp_lt_i32_e64 s8, -1, v18
	v_add_co_u32 v3, s2, s44, v3
	v_lshlrev_b64 v[25:26], 2, v[25:26]
	v_add_co_ci_u32_e64 v4, null, s45, v4, s2
	s_and_b32 s2, s1, s11
	v_ashrrev_i32_e32 v28, 31, v27
	v_add_co_u32 v3, s1, v3, v25
	v_add_co_ci_u32_e64 v4, null, v4, v26, s1
	v_add_co_u32 v17, s1, v3, v23
	v_add_co_ci_u32_e64 v23, null, v4, v24, s1
	v_lshlrev_b64 v[3:4], 2, v[27:28]
	v_add_co_u32 v5, s1, v17, v5
	v_add_co_ci_u32_e64 v6, null, v23, v6, s1
	v_mov_b32_e32 v17, 0
	v_add_co_u32 v3, s1, s48, v3
	v_add_co_ci_u32_e64 v4, null, s49, v4, s1
	v_add_co_u32 v5, s1, v5, v21
	v_add_co_ci_u32_e64 v6, null, v6, v22, s1
	s_and_b32 s1, s2, s5
	s_and_b32 s2, s1, vcc_lo
	s_and_saveexec_b32 s1, s2
	s_cbranch_execz .LBB3_5
; %bb.4:                                ;   in Loop: Header=BB3_3 Depth=1
	global_load_dword v17, v[3:4], off
	global_load_dword v21, v[5:6], off
	s_waitcnt vmcnt(0)
	v_fma_f32 v17, v17, v21, 0
.LBB3_5:                                ;   in Loop: Header=BB3_3 Depth=1
	s_or_b32 exec_lo, exec_lo, s1
	v_cmp_lt_i32_e64 s1, -2, v20
	v_add_nc_u32_e32 v21, 1, v20
	s_and_b32 s3, s4, s1
	v_cmp_gt_i32_e64 s2, s19, v21
	s_and_b32 s3, s3, s11
	s_and_b32 s3, s3, s5
	;; [unrolled: 1-line block ×3, first 2 shown]
	s_and_saveexec_b32 s3, s7
	s_cbranch_execz .LBB3_7
; %bb.6:                                ;   in Loop: Header=BB3_3 Depth=1
	global_load_dword v21, v[3:4], off offset:4
	global_load_dword v22, v[5:6], off offset:4
	s_waitcnt vmcnt(0)
	v_fmac_f32_e32 v17, v21, v22
.LBB3_7:                                ;   in Loop: Header=BB3_3 Depth=1
	s_or_b32 exec_lo, exec_lo, s3
	v_cmp_lt_i32_e64 s3, -3, v20
	v_add_nc_u32_e32 v20, 2, v20
	s_and_b32 s7, s4, s3
	v_cmp_gt_i32_e64 s4, s19, v20
	s_and_b32 s7, s7, s11
	s_and_b32 s7, s7, s5
	;; [unrolled: 1-line block ×3, first 2 shown]
	s_and_saveexec_b32 s7, s9
	s_cbranch_execz .LBB3_9
; %bb.8:                                ;   in Loop: Header=BB3_3 Depth=1
	global_load_dword v20, v[3:4], off offset:8
	global_load_dword v21, v[5:6], off offset:8
	s_waitcnt vmcnt(0)
	v_fmac_f32_e32 v17, v20, v21
.LBB3_9:                                ;   in Loop: Header=BB3_3 Depth=1
	s_or_b32 exec_lo, exec_lo, s7
	v_cmp_lt_i32_e64 s9, -2, v19
	v_add_nc_u32_e32 v20, 1, v19
	s_and_b32 s12, s8, s9
	v_cmp_gt_i32_e64 s7, s18, v20
	s_and_b32 s10, s12, s0
	s_and_b32 s13, s10, s11
	v_add_co_u32 v5, s10, v5, s50
	v_add_co_ci_u32_e64 v6, null, s51, v6, s10
	s_and_b32 s10, s13, s7
	s_and_b32 s13, s10, vcc_lo
	s_and_saveexec_b32 s10, s13
	s_cbranch_execz .LBB3_11
; %bb.10:                               ;   in Loop: Header=BB3_3 Depth=1
	global_load_dword v20, v[3:4], off offset:12
	global_load_dword v21, v[5:6], off
	s_waitcnt vmcnt(0)
	v_fmac_f32_e32 v17, v20, v21
.LBB3_11:                               ;   in Loop: Header=BB3_3 Depth=1
	s_or_b32 exec_lo, exec_lo, s10
	s_and_b32 s10, s12, s1
	s_and_b32 s10, s10, s11
	;; [unrolled: 1-line block ×4, first 2 shown]
	s_and_saveexec_b32 s10, s13
	s_cbranch_execz .LBB3_13
; %bb.12:                               ;   in Loop: Header=BB3_3 Depth=1
	global_load_dword v20, v[3:4], off offset:16
	global_load_dword v21, v[5:6], off offset:4
	s_waitcnt vmcnt(0)
	v_fmac_f32_e32 v17, v20, v21
.LBB3_13:                               ;   in Loop: Header=BB3_3 Depth=1
	s_or_b32 exec_lo, exec_lo, s10
	s_and_b32 s10, s12, s3
	s_and_b32 s10, s10, s11
	s_and_b32 s10, s10, s7
	s_and_b32 s12, s10, s4
	s_and_saveexec_b32 s10, s12
	s_cbranch_execz .LBB3_15
; %bb.14:                               ;   in Loop: Header=BB3_3 Depth=1
	global_load_dword v20, v[3:4], off offset:20
	global_load_dword v21, v[5:6], off offset:8
	s_waitcnt vmcnt(0)
	v_fmac_f32_e32 v17, v20, v21
.LBB3_15:                               ;   in Loop: Header=BB3_3 Depth=1
	s_or_b32 exec_lo, exec_lo, s10
	v_cmp_lt_i32_e64 s10, -3, v19
	v_add_nc_u32_e32 v19, 2, v19
	s_and_b32 s13, s8, s10
	v_cmp_gt_i32_e64 s8, s18, v19
	s_and_b32 s12, s13, s0
	s_and_b32 s68, s12, s11
	v_add_co_u32 v5, s12, v5, s50
	v_add_co_ci_u32_e64 v6, null, s51, v6, s12
	s_and_b32 s12, s68, s8
	s_and_b32 s68, s12, vcc_lo
	s_and_saveexec_b32 s12, s68
	s_cbranch_execz .LBB3_17
; %bb.16:                               ;   in Loop: Header=BB3_3 Depth=1
	global_load_dword v19, v[3:4], off offset:24
	global_load_dword v20, v[5:6], off
	s_waitcnt vmcnt(0)
	v_fmac_f32_e32 v17, v19, v20
.LBB3_17:                               ;   in Loop: Header=BB3_3 Depth=1
	s_or_b32 exec_lo, exec_lo, s12
	s_and_b32 s12, s13, s1
	s_and_b32 s12, s12, s11
	;; [unrolled: 1-line block ×4, first 2 shown]
	s_and_saveexec_b32 s12, s68
	s_cbranch_execz .LBB3_19
; %bb.18:                               ;   in Loop: Header=BB3_3 Depth=1
	global_load_dword v19, v[3:4], off offset:28
	global_load_dword v20, v[5:6], off offset:4
	s_waitcnt vmcnt(0)
	v_fmac_f32_e32 v17, v19, v20
.LBB3_19:                               ;   in Loop: Header=BB3_3 Depth=1
	s_or_b32 exec_lo, exec_lo, s12
	s_and_b32 s12, s13, s3
	s_and_b32 s11, s12, s11
	;; [unrolled: 1-line block ×4, first 2 shown]
	s_and_saveexec_b32 s11, s12
	s_cbranch_execz .LBB3_21
; %bb.20:                               ;   in Loop: Header=BB3_3 Depth=1
	global_load_dword v19, v[3:4], off offset:32
	global_load_dword v20, v[5:6], off offset:8
	s_waitcnt vmcnt(0)
	v_fmac_f32_e32 v17, v19, v20
.LBB3_21:                               ;   in Loop: Header=BB3_3 Depth=1
	s_or_b32 exec_lo, exec_lo, s11
	v_add_nc_u32_e32 v19, 1, v18
	v_cmp_lt_i32_e64 s12, -2, v18
	v_add_co_u32 v5, s13, v5, s50
	v_add_co_ci_u32_e64 v6, null, s51, v6, s13
	v_cmp_gt_i32_e64 s11, s17, v19
	s_and_b32 s68, s12, s6
	v_add_co_u32 v5, s13, v5, s52
	s_and_b32 s69, s68, s0
	v_add_co_ci_u32_e64 v6, null, s53, v6, s13
	s_and_b32 s69, s69, s11
	s_and_b32 s13, s69, s5
	s_and_b32 s69, s13, vcc_lo
	s_and_saveexec_b32 s13, s69
	s_cbranch_execz .LBB3_23
; %bb.22:                               ;   in Loop: Header=BB3_3 Depth=1
	global_load_dword v19, v[3:4], off offset:36
	global_load_dword v20, v[5:6], off
	s_waitcnt vmcnt(0)
	v_fmac_f32_e32 v17, v19, v20
.LBB3_23:                               ;   in Loop: Header=BB3_3 Depth=1
	s_or_b32 exec_lo, exec_lo, s13
	s_and_b32 s13, s68, s1
	s_and_b32 s13, s13, s11
	;; [unrolled: 1-line block ×4, first 2 shown]
	s_and_saveexec_b32 s13, s69
	s_cbranch_execz .LBB3_25
; %bb.24:                               ;   in Loop: Header=BB3_3 Depth=1
	global_load_dword v19, v[3:4], off offset:40
	global_load_dword v20, v[5:6], off offset:4
	s_waitcnt vmcnt(0)
	v_fmac_f32_e32 v17, v19, v20
.LBB3_25:                               ;   in Loop: Header=BB3_3 Depth=1
	s_or_b32 exec_lo, exec_lo, s13
	s_and_b32 s13, s68, s3
	s_and_b32 s13, s13, s11
	;; [unrolled: 1-line block ×4, first 2 shown]
	s_and_saveexec_b32 s13, s68
	s_cbranch_execz .LBB3_27
; %bb.26:                               ;   in Loop: Header=BB3_3 Depth=1
	global_load_dword v19, v[3:4], off offset:44
	global_load_dword v20, v[5:6], off offset:8
	s_waitcnt vmcnt(0)
	v_fmac_f32_e32 v17, v19, v20
.LBB3_27:                               ;   in Loop: Header=BB3_3 Depth=1
	s_or_b32 exec_lo, exec_lo, s13
	s_and_b32 s68, s12, s9
	s_and_b32 s13, s68, s0
	;; [unrolled: 1-line block ×3, first 2 shown]
	v_add_co_u32 v5, s13, v5, s50
	v_add_co_ci_u32_e64 v6, null, s51, v6, s13
	s_and_b32 s13, s69, s7
	s_and_b32 s69, s13, vcc_lo
	s_and_saveexec_b32 s13, s69
	s_cbranch_execz .LBB3_29
; %bb.28:                               ;   in Loop: Header=BB3_3 Depth=1
	global_load_dword v19, v[3:4], off offset:48
	global_load_dword v20, v[5:6], off
	s_waitcnt vmcnt(0)
	v_fmac_f32_e32 v17, v19, v20
.LBB3_29:                               ;   in Loop: Header=BB3_3 Depth=1
	s_or_b32 exec_lo, exec_lo, s13
	s_and_b32 s13, s68, s1
	s_and_b32 s13, s13, s11
	s_and_b32 s13, s13, s7
	s_and_b32 s69, s13, s2
	s_and_saveexec_b32 s13, s69
	s_cbranch_execz .LBB3_31
; %bb.30:                               ;   in Loop: Header=BB3_3 Depth=1
	global_load_dword v19, v[3:4], off offset:52
	global_load_dword v20, v[5:6], off offset:4
	s_waitcnt vmcnt(0)
	v_fmac_f32_e32 v17, v19, v20
.LBB3_31:                               ;   in Loop: Header=BB3_3 Depth=1
	s_or_b32 exec_lo, exec_lo, s13
	s_and_b32 s13, s68, s3
	s_and_b32 s13, s13, s11
	;; [unrolled: 1-line block ×4, first 2 shown]
	s_and_saveexec_b32 s13, s68
	s_cbranch_execz .LBB3_33
; %bb.32:                               ;   in Loop: Header=BB3_3 Depth=1
	global_load_dword v19, v[3:4], off offset:56
	global_load_dword v20, v[5:6], off offset:8
	s_waitcnt vmcnt(0)
	v_fmac_f32_e32 v17, v19, v20
.LBB3_33:                               ;   in Loop: Header=BB3_3 Depth=1
	s_or_b32 exec_lo, exec_lo, s13
	s_and_b32 s13, s12, s10
	s_and_b32 s12, s13, s0
	;; [unrolled: 1-line block ×3, first 2 shown]
	v_add_co_u32 v5, s12, v5, s50
	v_add_co_ci_u32_e64 v6, null, s51, v6, s12
	s_and_b32 s12, s68, s8
	s_and_b32 s68, s12, vcc_lo
	s_and_saveexec_b32 s12, s68
	s_cbranch_execz .LBB3_35
; %bb.34:                               ;   in Loop: Header=BB3_3 Depth=1
	global_load_dword v19, v[3:4], off offset:60
	global_load_dword v20, v[5:6], off
	s_waitcnt vmcnt(0)
	v_fmac_f32_e32 v17, v19, v20
.LBB3_35:                               ;   in Loop: Header=BB3_3 Depth=1
	s_or_b32 exec_lo, exec_lo, s12
	s_and_b32 s12, s13, s1
	s_and_b32 s12, s12, s11
	;; [unrolled: 1-line block ×4, first 2 shown]
	s_and_saveexec_b32 s12, s68
	s_cbranch_execz .LBB3_37
; %bb.36:                               ;   in Loop: Header=BB3_3 Depth=1
	global_load_dword v19, v[3:4], off offset:64
	global_load_dword v20, v[5:6], off offset:4
	s_waitcnt vmcnt(0)
	v_fmac_f32_e32 v17, v19, v20
.LBB3_37:                               ;   in Loop: Header=BB3_3 Depth=1
	s_or_b32 exec_lo, exec_lo, s12
	s_and_b32 s12, s13, s3
	s_and_b32 s11, s12, s11
	;; [unrolled: 1-line block ×4, first 2 shown]
	s_and_saveexec_b32 s11, s12
	s_cbranch_execz .LBB3_39
; %bb.38:                               ;   in Loop: Header=BB3_3 Depth=1
	global_load_dword v19, v[3:4], off offset:68
	global_load_dword v20, v[5:6], off offset:8
	s_waitcnt vmcnt(0)
	v_fmac_f32_e32 v17, v19, v20
.LBB3_39:                               ;   in Loop: Header=BB3_3 Depth=1
	s_or_b32 exec_lo, exec_lo, s11
	v_cmp_lt_i32_e64 s11, -3, v18
	v_add_nc_u32_e32 v18, 2, v18
	v_add_co_u32 v5, s12, v5, s50
	v_add_co_ci_u32_e64 v6, null, s51, v6, s12
	s_and_b32 s13, s11, s6
	v_cmp_gt_i32_e64 s6, s17, v18
	s_and_b32 s68, s13, s0
	v_add_co_u32 v5, s12, v5, s52
	v_add_co_ci_u32_e64 v6, null, s53, v6, s12
	s_and_b32 s68, s68, s6
	s_and_b32 s12, s68, s5
	s_and_b32 s68, s12, vcc_lo
	s_and_saveexec_b32 s12, s68
	s_cbranch_execz .LBB3_41
; %bb.40:                               ;   in Loop: Header=BB3_3 Depth=1
	global_load_dword v18, v[3:4], off offset:72
	global_load_dword v19, v[5:6], off
	s_waitcnt vmcnt(0)
	v_fmac_f32_e32 v17, v18, v19
.LBB3_41:                               ;   in Loop: Header=BB3_3 Depth=1
	s_or_b32 exec_lo, exec_lo, s12
	s_and_b32 s12, s13, s1
	s_and_b32 s12, s12, s6
	;; [unrolled: 1-line block ×4, first 2 shown]
	s_and_saveexec_b32 s12, s68
	s_cbranch_execz .LBB3_43
; %bb.42:                               ;   in Loop: Header=BB3_3 Depth=1
	global_load_dword v18, v[3:4], off offset:76
	global_load_dword v19, v[5:6], off offset:4
	s_waitcnt vmcnt(0)
	v_fmac_f32_e32 v17, v18, v19
.LBB3_43:                               ;   in Loop: Header=BB3_3 Depth=1
	s_or_b32 exec_lo, exec_lo, s12
	s_and_b32 s12, s13, s3
	s_and_b32 s12, s12, s6
	s_and_b32 s5, s12, s5
	s_and_b32 s12, s5, s4
	s_and_saveexec_b32 s5, s12
	s_cbranch_execz .LBB3_45
; %bb.44:                               ;   in Loop: Header=BB3_3 Depth=1
	global_load_dword v18, v[3:4], off offset:80
	global_load_dword v19, v[5:6], off offset:8
	s_waitcnt vmcnt(0)
	v_fmac_f32_e32 v17, v18, v19
.LBB3_45:                               ;   in Loop: Header=BB3_3 Depth=1
	s_or_b32 exec_lo, exec_lo, s5
	s_and_b32 s9, s11, s9
	s_and_b32 s5, s9, s0
	;; [unrolled: 1-line block ×3, first 2 shown]
	v_add_co_u32 v5, s5, v5, s50
	v_add_co_ci_u32_e64 v6, null, s51, v6, s5
	s_and_b32 s5, s12, s7
	s_and_b32 s12, s5, vcc_lo
	s_and_saveexec_b32 s5, s12
	s_cbranch_execz .LBB3_47
; %bb.46:                               ;   in Loop: Header=BB3_3 Depth=1
	global_load_dword v18, v[3:4], off offset:84
	global_load_dword v19, v[5:6], off
	s_waitcnt vmcnt(0)
	v_fmac_f32_e32 v17, v18, v19
.LBB3_47:                               ;   in Loop: Header=BB3_3 Depth=1
	s_or_b32 exec_lo, exec_lo, s5
	s_and_b32 s5, s9, s1
	s_and_b32 s5, s5, s6
	;; [unrolled: 1-line block ×4, first 2 shown]
	s_and_saveexec_b32 s5, s12
	s_cbranch_execz .LBB3_49
; %bb.48:                               ;   in Loop: Header=BB3_3 Depth=1
	global_load_dword v18, v[3:4], off offset:88
	global_load_dword v19, v[5:6], off offset:4
	s_waitcnt vmcnt(0)
	v_fmac_f32_e32 v17, v18, v19
.LBB3_49:                               ;   in Loop: Header=BB3_3 Depth=1
	s_or_b32 exec_lo, exec_lo, s5
	s_and_b32 s5, s9, s3
	s_and_b32 s5, s5, s6
	;; [unrolled: 1-line block ×4, first 2 shown]
	s_and_saveexec_b32 s5, s7
	s_cbranch_execz .LBB3_51
; %bb.50:                               ;   in Loop: Header=BB3_3 Depth=1
	global_load_dword v18, v[3:4], off offset:92
	global_load_dword v19, v[5:6], off offset:8
	s_waitcnt vmcnt(0)
	v_fmac_f32_e32 v17, v18, v19
.LBB3_51:                               ;   in Loop: Header=BB3_3 Depth=1
	s_or_b32 exec_lo, exec_lo, s5
	s_and_b32 s5, s11, s10
	s_and_b32 s0, s5, s0
	;; [unrolled: 1-line block ×3, first 2 shown]
	v_add_co_u32 v5, s0, v5, s50
	v_add_co_ci_u32_e64 v6, null, s51, v6, s0
	s_and_b32 s0, s7, s8
	s_and_b32 s7, s0, vcc_lo
	s_and_saveexec_b32 s0, s7
	s_cbranch_execz .LBB3_53
; %bb.52:                               ;   in Loop: Header=BB3_3 Depth=1
	global_load_dword v18, v[3:4], off offset:96
	global_load_dword v19, v[5:6], off
	s_waitcnt vmcnt(0)
	v_fmac_f32_e32 v17, v18, v19
.LBB3_53:                               ;   in Loop: Header=BB3_3 Depth=1
	s_or_b32 exec_lo, exec_lo, s0
	s_and_b32 s0, s5, s1
	s_and_b32 s0, s0, s6
	;; [unrolled: 1-line block ×4, first 2 shown]
	s_and_saveexec_b32 s0, s1
	s_cbranch_execz .LBB3_55
; %bb.54:                               ;   in Loop: Header=BB3_3 Depth=1
	global_load_dword v18, v[3:4], off offset:100
	global_load_dword v19, v[5:6], off offset:4
	s_waitcnt vmcnt(0)
	v_fmac_f32_e32 v17, v18, v19
.LBB3_55:                               ;   in Loop: Header=BB3_3 Depth=1
	s_or_b32 exec_lo, exec_lo, s0
	s_and_b32 s0, s5, s3
	s_and_b32 s0, s0, s6
	;; [unrolled: 1-line block ×4, first 2 shown]
	s_and_saveexec_b32 s0, s1
	s_cbranch_execz .LBB3_57
; %bb.56:                               ;   in Loop: Header=BB3_3 Depth=1
	global_load_dword v3, v[3:4], off offset:104
	global_load_dword v4, v[5:6], off offset:8
	s_waitcnt vmcnt(0)
	v_fmac_f32_e32 v17, v3, v4
.LBB3_57:                               ;   in Loop: Header=BB3_3 Depth=1
	s_or_b32 exec_lo, exec_lo, s0
	s_andn2_b32 vcc_lo, exec_lo, s56
	s_cbranch_vccnz .LBB3_2
; %bb.58:                               ;   in Loop: Header=BB3_3 Depth=1
	v_lshlrev_b64 v[2:3], 2, v[1:2]
	v_add_co_u32 v2, vcc_lo, s40, v2
	v_add_co_ci_u32_e64 v3, null, s41, v3, vcc_lo
	global_load_dword v2, v[2:3], off
	s_waitcnt vmcnt(0)
	v_add_f32_e32 v17, v17, v2
	s_branch .LBB3_2
.LBB3_59:
	s_endpgm
	.section	.rodata,"a",@progbits
	.p2align	6, 0x0
	.amdhsa_kernel _ZN2at6native12_GLOBAL__N_128conv_depthwise3d_cuda_kernelIffLi3ELi3ELi3ELi1ELi1ELi1EEEvN5torch10headeronly6detail27GenericPackedTensorAccessorINS5_14TensorAccessorIN3c108ArrayRefIlEEKT_Lm4ENS4_16DefaultPtrTraitsEiEENS_6detail16IndexBoundsCheckILm5EiEESC_Lm5ESD_iEENS6_INS7_ISA_SB_Lm4ESD_iEESH_SB_Lm5ESD_iEESI_PSC_iiiiiiiii
		.amdhsa_group_segment_fixed_size 0
		.amdhsa_private_segment_fixed_size 0
		.amdhsa_kernarg_size 448
		.amdhsa_user_sgpr_count 6
		.amdhsa_user_sgpr_private_segment_buffer 1
		.amdhsa_user_sgpr_dispatch_ptr 0
		.amdhsa_user_sgpr_queue_ptr 0
		.amdhsa_user_sgpr_kernarg_segment_ptr 1
		.amdhsa_user_sgpr_dispatch_id 0
		.amdhsa_user_sgpr_flat_scratch_init 0
		.amdhsa_user_sgpr_private_segment_size 0
		.amdhsa_wavefront_size32 1
		.amdhsa_uses_dynamic_stack 0
		.amdhsa_system_sgpr_private_segment_wavefront_offset 0
		.amdhsa_system_sgpr_workgroup_id_x 1
		.amdhsa_system_sgpr_workgroup_id_y 0
		.amdhsa_system_sgpr_workgroup_id_z 0
		.amdhsa_system_sgpr_workgroup_info 0
		.amdhsa_system_vgpr_workitem_id 0
		.amdhsa_next_free_vgpr 29
		.amdhsa_next_free_sgpr 70
		.amdhsa_reserve_vcc 1
		.amdhsa_reserve_flat_scratch 0
		.amdhsa_float_round_mode_32 0
		.amdhsa_float_round_mode_16_64 0
		.amdhsa_float_denorm_mode_32 3
		.amdhsa_float_denorm_mode_16_64 3
		.amdhsa_dx10_clamp 1
		.amdhsa_ieee_mode 1
		.amdhsa_fp16_overflow 0
		.amdhsa_workgroup_processor_mode 1
		.amdhsa_memory_ordered 1
		.amdhsa_forward_progress 1
		.amdhsa_shared_vgpr_count 0
		.amdhsa_exception_fp_ieee_invalid_op 0
		.amdhsa_exception_fp_denorm_src 0
		.amdhsa_exception_fp_ieee_div_zero 0
		.amdhsa_exception_fp_ieee_overflow 0
		.amdhsa_exception_fp_ieee_underflow 0
		.amdhsa_exception_fp_ieee_inexact 0
		.amdhsa_exception_int_div_zero 0
	.end_amdhsa_kernel
	.section	.text._ZN2at6native12_GLOBAL__N_128conv_depthwise3d_cuda_kernelIffLi3ELi3ELi3ELi1ELi1ELi1EEEvN5torch10headeronly6detail27GenericPackedTensorAccessorINS5_14TensorAccessorIN3c108ArrayRefIlEEKT_Lm4ENS4_16DefaultPtrTraitsEiEENS_6detail16IndexBoundsCheckILm5EiEESC_Lm5ESD_iEENS6_INS7_ISA_SB_Lm4ESD_iEESH_SB_Lm5ESD_iEESI_PSC_iiiiiiiii,"axG",@progbits,_ZN2at6native12_GLOBAL__N_128conv_depthwise3d_cuda_kernelIffLi3ELi3ELi3ELi1ELi1ELi1EEEvN5torch10headeronly6detail27GenericPackedTensorAccessorINS5_14TensorAccessorIN3c108ArrayRefIlEEKT_Lm4ENS4_16DefaultPtrTraitsEiEENS_6detail16IndexBoundsCheckILm5EiEESC_Lm5ESD_iEENS6_INS7_ISA_SB_Lm4ESD_iEESH_SB_Lm5ESD_iEESI_PSC_iiiiiiiii,comdat
.Lfunc_end3:
	.size	_ZN2at6native12_GLOBAL__N_128conv_depthwise3d_cuda_kernelIffLi3ELi3ELi3ELi1ELi1ELi1EEEvN5torch10headeronly6detail27GenericPackedTensorAccessorINS5_14TensorAccessorIN3c108ArrayRefIlEEKT_Lm4ENS4_16DefaultPtrTraitsEiEENS_6detail16IndexBoundsCheckILm5EiEESC_Lm5ESD_iEENS6_INS7_ISA_SB_Lm4ESD_iEESH_SB_Lm5ESD_iEESI_PSC_iiiiiiiii, .Lfunc_end3-_ZN2at6native12_GLOBAL__N_128conv_depthwise3d_cuda_kernelIffLi3ELi3ELi3ELi1ELi1ELi1EEEvN5torch10headeronly6detail27GenericPackedTensorAccessorINS5_14TensorAccessorIN3c108ArrayRefIlEEKT_Lm4ENS4_16DefaultPtrTraitsEiEENS_6detail16IndexBoundsCheckILm5EiEESC_Lm5ESD_iEENS6_INS7_ISA_SB_Lm4ESD_iEESH_SB_Lm5ESD_iEESI_PSC_iiiiiiiii
                                        ; -- End function
	.set _ZN2at6native12_GLOBAL__N_128conv_depthwise3d_cuda_kernelIffLi3ELi3ELi3ELi1ELi1ELi1EEEvN5torch10headeronly6detail27GenericPackedTensorAccessorINS5_14TensorAccessorIN3c108ArrayRefIlEEKT_Lm4ENS4_16DefaultPtrTraitsEiEENS_6detail16IndexBoundsCheckILm5EiEESC_Lm5ESD_iEENS6_INS7_ISA_SB_Lm4ESD_iEESH_SB_Lm5ESD_iEESI_PSC_iiiiiiiii.num_vgpr, 29
	.set _ZN2at6native12_GLOBAL__N_128conv_depthwise3d_cuda_kernelIffLi3ELi3ELi3ELi1ELi1ELi1EEEvN5torch10headeronly6detail27GenericPackedTensorAccessorINS5_14TensorAccessorIN3c108ArrayRefIlEEKT_Lm4ENS4_16DefaultPtrTraitsEiEENS_6detail16IndexBoundsCheckILm5EiEESC_Lm5ESD_iEENS6_INS7_ISA_SB_Lm4ESD_iEESH_SB_Lm5ESD_iEESI_PSC_iiiiiiiii.num_agpr, 0
	.set _ZN2at6native12_GLOBAL__N_128conv_depthwise3d_cuda_kernelIffLi3ELi3ELi3ELi1ELi1ELi1EEEvN5torch10headeronly6detail27GenericPackedTensorAccessorINS5_14TensorAccessorIN3c108ArrayRefIlEEKT_Lm4ENS4_16DefaultPtrTraitsEiEENS_6detail16IndexBoundsCheckILm5EiEESC_Lm5ESD_iEENS6_INS7_ISA_SB_Lm4ESD_iEESH_SB_Lm5ESD_iEESI_PSC_iiiiiiiii.numbered_sgpr, 70
	.set _ZN2at6native12_GLOBAL__N_128conv_depthwise3d_cuda_kernelIffLi3ELi3ELi3ELi1ELi1ELi1EEEvN5torch10headeronly6detail27GenericPackedTensorAccessorINS5_14TensorAccessorIN3c108ArrayRefIlEEKT_Lm4ENS4_16DefaultPtrTraitsEiEENS_6detail16IndexBoundsCheckILm5EiEESC_Lm5ESD_iEENS6_INS7_ISA_SB_Lm4ESD_iEESH_SB_Lm5ESD_iEESI_PSC_iiiiiiiii.num_named_barrier, 0
	.set _ZN2at6native12_GLOBAL__N_128conv_depthwise3d_cuda_kernelIffLi3ELi3ELi3ELi1ELi1ELi1EEEvN5torch10headeronly6detail27GenericPackedTensorAccessorINS5_14TensorAccessorIN3c108ArrayRefIlEEKT_Lm4ENS4_16DefaultPtrTraitsEiEENS_6detail16IndexBoundsCheckILm5EiEESC_Lm5ESD_iEENS6_INS7_ISA_SB_Lm4ESD_iEESH_SB_Lm5ESD_iEESI_PSC_iiiiiiiii.private_seg_size, 0
	.set _ZN2at6native12_GLOBAL__N_128conv_depthwise3d_cuda_kernelIffLi3ELi3ELi3ELi1ELi1ELi1EEEvN5torch10headeronly6detail27GenericPackedTensorAccessorINS5_14TensorAccessorIN3c108ArrayRefIlEEKT_Lm4ENS4_16DefaultPtrTraitsEiEENS_6detail16IndexBoundsCheckILm5EiEESC_Lm5ESD_iEENS6_INS7_ISA_SB_Lm4ESD_iEESH_SB_Lm5ESD_iEESI_PSC_iiiiiiiii.uses_vcc, 1
	.set _ZN2at6native12_GLOBAL__N_128conv_depthwise3d_cuda_kernelIffLi3ELi3ELi3ELi1ELi1ELi1EEEvN5torch10headeronly6detail27GenericPackedTensorAccessorINS5_14TensorAccessorIN3c108ArrayRefIlEEKT_Lm4ENS4_16DefaultPtrTraitsEiEENS_6detail16IndexBoundsCheckILm5EiEESC_Lm5ESD_iEENS6_INS7_ISA_SB_Lm4ESD_iEESH_SB_Lm5ESD_iEESI_PSC_iiiiiiiii.uses_flat_scratch, 0
	.set _ZN2at6native12_GLOBAL__N_128conv_depthwise3d_cuda_kernelIffLi3ELi3ELi3ELi1ELi1ELi1EEEvN5torch10headeronly6detail27GenericPackedTensorAccessorINS5_14TensorAccessorIN3c108ArrayRefIlEEKT_Lm4ENS4_16DefaultPtrTraitsEiEENS_6detail16IndexBoundsCheckILm5EiEESC_Lm5ESD_iEENS6_INS7_ISA_SB_Lm4ESD_iEESH_SB_Lm5ESD_iEESI_PSC_iiiiiiiii.has_dyn_sized_stack, 0
	.set _ZN2at6native12_GLOBAL__N_128conv_depthwise3d_cuda_kernelIffLi3ELi3ELi3ELi1ELi1ELi1EEEvN5torch10headeronly6detail27GenericPackedTensorAccessorINS5_14TensorAccessorIN3c108ArrayRefIlEEKT_Lm4ENS4_16DefaultPtrTraitsEiEENS_6detail16IndexBoundsCheckILm5EiEESC_Lm5ESD_iEENS6_INS7_ISA_SB_Lm4ESD_iEESH_SB_Lm5ESD_iEESI_PSC_iiiiiiiii.has_recursion, 0
	.set _ZN2at6native12_GLOBAL__N_128conv_depthwise3d_cuda_kernelIffLi3ELi3ELi3ELi1ELi1ELi1EEEvN5torch10headeronly6detail27GenericPackedTensorAccessorINS5_14TensorAccessorIN3c108ArrayRefIlEEKT_Lm4ENS4_16DefaultPtrTraitsEiEENS_6detail16IndexBoundsCheckILm5EiEESC_Lm5ESD_iEENS6_INS7_ISA_SB_Lm4ESD_iEESH_SB_Lm5ESD_iEESI_PSC_iiiiiiiii.has_indirect_call, 0
	.section	.AMDGPU.csdata,"",@progbits
; Kernel info:
; codeLenInByte = 3400
; TotalNumSgprs: 72
; NumVgprs: 29
; ScratchSize: 0
; MemoryBound: 0
; FloatMode: 240
; IeeeMode: 1
; LDSByteSize: 0 bytes/workgroup (compile time only)
; SGPRBlocks: 0
; VGPRBlocks: 3
; NumSGPRsForWavesPerEU: 72
; NumVGPRsForWavesPerEU: 29
; Occupancy: 16
; WaveLimiterHint : 0
; COMPUTE_PGM_RSRC2:SCRATCH_EN: 0
; COMPUTE_PGM_RSRC2:USER_SGPR: 6
; COMPUTE_PGM_RSRC2:TRAP_HANDLER: 0
; COMPUTE_PGM_RSRC2:TGID_X_EN: 1
; COMPUTE_PGM_RSRC2:TGID_Y_EN: 0
; COMPUTE_PGM_RSRC2:TGID_Z_EN: 0
; COMPUTE_PGM_RSRC2:TIDIG_COMP_CNT: 0
	.section	.text._ZN2at6native12_GLOBAL__N_128conv_depthwise3d_cuda_kernelIffLin1ELin1ELin1ELi1ELi1ELi1EEEvN5torch10headeronly6detail27GenericPackedTensorAccessorINS5_14TensorAccessorIN3c108ArrayRefIlEEKT_Lm4ENS4_16DefaultPtrTraitsEiEENS_6detail16IndexBoundsCheckILm5EiEESC_Lm5ESD_iEENS6_INS7_ISA_SB_Lm4ESD_iEESH_SB_Lm5ESD_iEESI_PSC_iiiiiiiii,"axG",@progbits,_ZN2at6native12_GLOBAL__N_128conv_depthwise3d_cuda_kernelIffLin1ELin1ELin1ELi1ELi1ELi1EEEvN5torch10headeronly6detail27GenericPackedTensorAccessorINS5_14TensorAccessorIN3c108ArrayRefIlEEKT_Lm4ENS4_16DefaultPtrTraitsEiEENS_6detail16IndexBoundsCheckILm5EiEESC_Lm5ESD_iEENS6_INS7_ISA_SB_Lm4ESD_iEESH_SB_Lm5ESD_iEESI_PSC_iiiiiiiii,comdat
	.globl	_ZN2at6native12_GLOBAL__N_128conv_depthwise3d_cuda_kernelIffLin1ELin1ELin1ELi1ELi1ELi1EEEvN5torch10headeronly6detail27GenericPackedTensorAccessorINS5_14TensorAccessorIN3c108ArrayRefIlEEKT_Lm4ENS4_16DefaultPtrTraitsEiEENS_6detail16IndexBoundsCheckILm5EiEESC_Lm5ESD_iEENS6_INS7_ISA_SB_Lm4ESD_iEESH_SB_Lm5ESD_iEESI_PSC_iiiiiiiii ; -- Begin function _ZN2at6native12_GLOBAL__N_128conv_depthwise3d_cuda_kernelIffLin1ELin1ELin1ELi1ELi1ELi1EEEvN5torch10headeronly6detail27GenericPackedTensorAccessorINS5_14TensorAccessorIN3c108ArrayRefIlEEKT_Lm4ENS4_16DefaultPtrTraitsEiEENS_6detail16IndexBoundsCheckILm5EiEESC_Lm5ESD_iEENS6_INS7_ISA_SB_Lm4ESD_iEESH_SB_Lm5ESD_iEESI_PSC_iiiiiiiii
	.p2align	8
	.type	_ZN2at6native12_GLOBAL__N_128conv_depthwise3d_cuda_kernelIffLin1ELin1ELin1ELi1ELi1ELi1EEEvN5torch10headeronly6detail27GenericPackedTensorAccessorINS5_14TensorAccessorIN3c108ArrayRefIlEEKT_Lm4ENS4_16DefaultPtrTraitsEiEENS_6detail16IndexBoundsCheckILm5EiEESC_Lm5ESD_iEENS6_INS7_ISA_SB_Lm4ESD_iEESH_SB_Lm5ESD_iEESI_PSC_iiiiiiiii,@function
_ZN2at6native12_GLOBAL__N_128conv_depthwise3d_cuda_kernelIffLin1ELin1ELin1ELi1ELi1ELi1EEEvN5torch10headeronly6detail27GenericPackedTensorAccessorINS5_14TensorAccessorIN3c108ArrayRefIlEEKT_Lm4ENS4_16DefaultPtrTraitsEiEENS_6detail16IndexBoundsCheckILm5EiEESC_Lm5ESD_iEENS6_INS7_ISA_SB_Lm4ESD_iEESH_SB_Lm5ESD_iEESI_PSC_iiiiiiiii: ; @_ZN2at6native12_GLOBAL__N_128conv_depthwise3d_cuda_kernelIffLin1ELin1ELin1ELi1ELi1ELi1EEEvN5torch10headeronly6detail27GenericPackedTensorAccessorINS5_14TensorAccessorIN3c108ArrayRefIlEEKT_Lm4ENS4_16DefaultPtrTraitsEiEENS_6detail16IndexBoundsCheckILm5EiEESC_Lm5ESD_iEENS6_INS7_ISA_SB_Lm4ESD_iEESH_SB_Lm5ESD_iEESI_PSC_iiiiiiiii
; %bb.0:
	s_clause 0x3
	s_load_dwordx4 s[8:11], s[4:5], 0xc
	s_load_dword s3, s[4:5], 0xcc
	s_load_dwordx4 s[12:15], s[4:5], 0x38
	s_load_dwordx2 s[28:29], s[4:5], 0x48
	s_waitcnt lgkmcnt(0)
	s_abs_i32 s2, s8
	s_add_u32 s0, s4, 0xc0
	v_cvt_f32_u32_e32 v1, s2
	s_addc_u32 s1, s5, 0
	s_and_b32 s44, s3, 0xffff
	s_mul_i32 s30, s29, s12
	s_ashr_i32 s31, s30, 31
	v_rcp_iflag_f32_e32 v2, v1
	v_mov_b32_e32 v1, 0
	v_mad_u64_u32 v[0:1], null, s44, s6, v[0:1]
	s_mov_b32 s6, exec_lo
	v_mul_f32_e32 v2, 0x4f7ffffe, v2
	v_cvt_u32_f32_e32 v2, v2
	v_readfirstlane_b32 s3, v2
	v_cmpx_gt_i64_e64 s[30:31], v[0:1]
	s_cbranch_execz .LBB4_17
; %bb.1:
	s_sub_i32 s6, 0, s2
	s_abs_i32 s33, s13
	s_mul_i32 s6, s6, s3
	s_clause 0x1
	s_load_dwordx4 s[16:19], s[4:5], 0x70
	s_load_dwordx2 s[34:35], s[4:5], 0x90
	s_mul_hi_u32 s6, s3, s6
	s_ashr_i32 s12, s13, 31
	s_add_i32 s3, s3, s6
	s_ashr_i32 s6, s8, 31
	s_mul_hi_u32 s3, s33, s3
	s_xor_b32 s6, s12, s6
	s_mul_i32 s7, s3, s2
	s_add_i32 s8, s3, 1
	s_sub_i32 s7, s33, s7
	v_cvt_f32_u32_e32 v2, s33
	s_waitcnt lgkmcnt(0)
	s_sub_i32 s19, s7, s2
	s_cmp_ge_u32 s7, s2
	s_load_dword s0, s[0:1], 0x0
	s_cselect_b32 s3, s8, s3
	s_cselect_b32 s7, s19, s7
	s_add_i32 s8, s3, 1
	s_cmp_ge_u32 s7, s2
	v_rcp_iflag_f32_e32 v2, v2
	s_cselect_b32 s2, s8, s3
	s_clause 0x1
	s_load_dword s8, s[4:5], 0x7c
	s_load_dwordx4 s[20:23], s[4:5], 0x98
	s_xor_b32 s2, s2, s6
	s_load_dwordx2 s[36:37], s[4:5], 0xa8
	s_sub_i32 s45, s2, s6
	s_cmp_gt_i32 s16, 0
	s_clause 0x1
	s_load_dwordx2 s[38:39], s[4:5], 0x0
	s_load_dwordx4 s[24:27], s[4:5], 0x1c
	s_cselect_b32 s19, -1, 0
	s_cmp_gt_i32 s17, 0
	v_mul_f32_e32 v2, 0x4f7ffffe, v2
	s_cselect_b32 s48, -1, 0
	s_cmp_gt_i32 s18, 0
	s_clause 0x1
	s_load_dword s55, s[4:5], 0x2c
	s_load_dwordx2 s[40:41], s[4:5], 0x30
	s_cselect_b32 s49, -1, 0
	s_sub_i32 s3, s10, s17
	s_sub_i32 s2, s11, s18
	s_mul_i32 s46, s11, s3
	s_ashr_i32 s3, s2, 31
	s_ashr_i32 s47, s46, 31
	s_cmp_lg_u64 s[34:35], 0
	v_cvt_u32_f32_e32 v2, v2
	s_cselect_b32 s50, -1, 0
	s_abs_i32 s51, s28
	s_abs_i32 s52, s15
	v_cvt_f32_u32_e32 v3, s51
	s_abs_i32 s53, s14
	v_cvt_f32_u32_e32 v4, s52
	v_cvt_f32_u32_e32 v5, s53
	s_abs_i32 s54, s45
	v_rcp_iflag_f32_e32 v3, v3
	v_cvt_f32_u32_e32 v6, s54
	v_rcp_iflag_f32_e32 v4, v4
	v_rcp_iflag_f32_e32 v5, v5
	s_sub_i32 s1, 0, s51
	s_sub_i32 s6, 0, s52
	v_rcp_iflag_f32_e32 v6, v6
	s_mov_b32 s56, 0
	s_waitcnt lgkmcnt(0)
	s_mul_i32 s57, s0, s44
	s_ashr_i32 s58, s28, 31
	v_mul_f32_e32 v3, 0x4f7ffffe, v3
	s_ashr_i32 s59, s15, 31
	v_mul_f32_e32 v4, 0x4f7ffffe, v4
	v_mul_f32_e32 v5, 0x4f7ffffe, v5
	s_ashr_i32 s60, s14, 31
	v_cvt_u32_f32_e32 v3, v3
	v_mul_f32_e32 v6, 0x4f7ffffe, v6
	v_cvt_u32_f32_e32 v4, v4
	v_cvt_u32_f32_e32 v5, v5
	s_ashr_i32 s61, s45, 31
	v_mul_lo_u32 v7, s1, v3
	v_cvt_u32_f32_e32 v6, v6
	s_sub_i32 s1, 0, s53
	v_mul_lo_u32 v8, s6, v4
	v_mul_lo_u32 v9, s1, v5
	s_sub_i32 s1, 0, s33
	s_sub_i32 s6, 0, s54
	v_mul_lo_u32 v10, s1, v2
	v_mul_lo_u32 v11, s6, v6
	s_clause 0x1
	s_load_dwordx2 s[42:43], s[4:5], 0x60
	s_load_dwordx4 s[4:7], s[4:5], 0x50
	v_mul_hi_u32 v7, v3, v7
	v_mul_hi_u32 v12, v4, v8
	;; [unrolled: 1-line block ×3, first 2 shown]
	s_lshl_b64 s[44:45], s[2:3], 2
	s_lshl_b64 s[46:47], s[46:47], 2
	v_mul_hi_u32 v14, v2, v10
	v_mul_hi_u32 v15, v6, v11
	v_add_nc_u32_e32 v8, v3, v7
	v_add_nc_u32_e32 v9, v4, v12
	;; [unrolled: 1-line block ×5, first 2 shown]
	s_branch .LBB4_3
.LBB4_2:                                ;   in Loop: Header=BB4_3 Depth=1
	v_mul_lo_u32 v3, v16, s29
	s_waitcnt lgkmcnt(0)
	v_mul_lo_u32 v5, s4, v2
	v_mul_lo_u32 v2, s5, v15
	;; [unrolled: 1-line block ×3, first 2 shown]
	v_add_co_u32 v0, vcc_lo, v0, s57
	v_add_co_ci_u32_e64 v1, null, 0, v1, vcc_lo
	v_ashrrev_i32_e32 v4, 31, v3
	v_ashrrev_i32_e32 v6, 31, v5
	v_mul_lo_u32 v18, s7, v13
	v_ashrrev_i32_e32 v15, 31, v14
	v_lshlrev_b64 v[20:21], 2, v[3:4]
	v_ashrrev_i32_e32 v3, 31, v2
	v_lshlrev_b64 v[4:5], 2, v[5:6]
	v_ashrrev_i32_e32 v19, 31, v18
	v_add_co_u32 v6, vcc_lo, s40, v20
	v_add_co_ci_u32_e64 v7, null, s41, v21, vcc_lo
	v_lshlrev_b64 v[2:3], 2, v[2:3]
	v_add_co_u32 v6, vcc_lo, v6, v4
	v_add_co_ci_u32_e64 v7, null, v7, v5, vcc_lo
	v_lshlrev_b64 v[4:5], 2, v[14:15]
	v_add_co_u32 v6, vcc_lo, v6, v2
	v_add_co_ci_u32_e64 v7, null, v7, v3, vcc_lo
	v_lshlrev_b64 v[2:3], 2, v[18:19]
	v_add_co_u32 v4, vcc_lo, v6, v4
	v_add_co_ci_u32_e64 v5, null, v7, v5, vcc_lo
	v_cmp_le_i64_e32 vcc_lo, s[30:31], v[0:1]
	v_add_co_u32 v2, s0, v4, v2
	v_add_co_ci_u32_e64 v3, null, v5, v3, s0
	s_or_b32 s56, vcc_lo, s56
	global_store_dword v[2:3], v17, off
	s_andn2_b32 exec_lo, exec_lo, s56
	s_cbranch_execz .LBB4_17
.LBB4_3:                                ; =>This Loop Header: Depth=1
                                        ;     Child Loop BB4_6 Depth 2
                                        ;       Child Loop BB4_9 Depth 3
                                        ;         Child Loop BB4_12 Depth 4
	v_sub_nc_u32_e32 v2, 0, v0
	v_max_i32_e32 v2, v0, v2
	v_mul_hi_u32 v3, v2, v8
	v_mul_lo_u32 v4, v3, s51
	v_sub_nc_u32_e32 v2, v2, v4
	v_add_nc_u32_e32 v4, 1, v3
	v_subrev_nc_u32_e32 v5, s51, v2
	v_cmp_le_u32_e32 vcc_lo, s51, v2
	v_cndmask_b32_e32 v3, v3, v4, vcc_lo
	v_cndmask_b32_e32 v2, v2, v5, vcc_lo
	v_ashrrev_i32_e32 v4, 31, v0
	v_add_nc_u32_e32 v5, 1, v3
	v_cmp_le_u32_e32 vcc_lo, s51, v2
	v_xor_b32_e32 v4, s58, v4
	v_cndmask_b32_e32 v2, v3, v5, vcc_lo
	v_xor_b32_e32 v2, v2, v4
	v_sub_nc_u32_e32 v3, v2, v4
	v_sub_nc_u32_e32 v2, 0, v3
	v_max_i32_e32 v2, v3, v2
	v_mul_hi_u32 v4, v2, v9
	v_mul_lo_u32 v5, v4, s52
	v_sub_nc_u32_e32 v2, v2, v5
	v_add_nc_u32_e32 v5, 1, v4
	v_subrev_nc_u32_e32 v6, s52, v2
	v_cmp_le_u32_e32 vcc_lo, s52, v2
	v_cndmask_b32_e32 v4, v4, v5, vcc_lo
	v_cndmask_b32_e32 v2, v2, v6, vcc_lo
	v_ashrrev_i32_e32 v5, 31, v3
	v_add_nc_u32_e32 v6, 1, v4
	v_cmp_le_u32_e32 vcc_lo, s52, v2
	v_xor_b32_e32 v5, s59, v5
	v_cndmask_b32_e32 v2, v4, v6, vcc_lo
	v_xor_b32_e32 v2, v2, v5
	v_sub_nc_u32_e32 v4, v2, v5
	;; [unrolled: 17-line block ×3, first 2 shown]
	v_sub_nc_u32_e32 v5, 0, v2
	v_mul_lo_u32 v15, v2, s14
	v_max_i32_e32 v5, v2, v5
	v_sub_nc_u32_e32 v15, v4, v15
	v_mul_hi_u32 v6, v5, v11
	v_mul_lo_u32 v7, v6, s33
	v_sub_nc_u32_e32 v5, v5, v7
	v_add_nc_u32_e32 v7, 1, v6
	v_subrev_nc_u32_e32 v13, s33, v5
	v_cmp_le_u32_e32 vcc_lo, s33, v5
	v_cndmask_b32_e32 v6, v6, v7, vcc_lo
	v_cndmask_b32_e32 v5, v5, v13, vcc_lo
	v_ashrrev_i32_e32 v7, 31, v2
	v_add_nc_u32_e32 v13, 1, v6
	v_cmp_le_u32_e32 vcc_lo, s33, v5
	v_xor_b32_e32 v7, s12, v7
	v_cndmask_b32_e32 v5, v6, v13, vcc_lo
	v_mul_lo_u32 v6, v3, s28
	s_andn2_b32 vcc_lo, exec_lo, s19
	v_xor_b32_e32 v5, v5, v7
	v_sub_nc_u32_e32 v13, v0, v6
	v_sub_nc_u32_e32 v16, v5, v7
	v_mul_lo_u32 v7, v4, s15
	v_mul_lo_u32 v5, v16, s13
	v_sub_nc_u32_e32 v14, v3, v7
	v_sub_nc_u32_e32 v2, v2, v5
	v_ashrrev_i32_e32 v3, 31, v2
	s_cbranch_vccnz .LBB4_14
; %bb.4:                                ;   in Loop: Header=BB4_3 Depth=1
	v_sub_nc_u32_e32 v4, 0, v2
	v_mul_lo_u32 v17, v15, s20
	v_mul_lo_u32 v19, v14, s21
	s_mov_b32 s3, 0
	v_max_i32_e32 v4, v2, v4
	v_subrev_nc_u32_e32 v18, s23, v17
	v_mul_hi_u32 v5, v4, v12
	v_subrev_nc_u32_e32 v19, s36, v19
	v_mul_lo_u32 v23, s26, v18
	v_mul_lo_u32 v25, s27, v19
	v_mul_lo_u32 v6, v5, s54
	v_ashrrev_i32_e32 v24, 31, v23
	v_ashrrev_i32_e32 v26, 31, v25
	v_sub_nc_u32_e32 v4, v4, v6
	v_add_nc_u32_e32 v6, 1, v5
	v_subrev_nc_u32_e32 v7, s54, v4
	v_cmp_le_u32_e32 vcc_lo, s54, v4
	v_cndmask_b32_e32 v5, v5, v6, vcc_lo
	v_cndmask_b32_e32 v4, v4, v7, vcc_lo
	v_xor_b32_e32 v7, s61, v3
	v_add_nc_u32_e32 v6, 1, v5
	v_cmp_le_u32_e32 vcc_lo, s54, v4
	v_cndmask_b32_e32 v4, v5, v6, vcc_lo
	v_mul_lo_u32 v6, s8, v2
	v_xor_b32_e32 v5, v4, v7
	v_mul_lo_u32 v4, s24, v16
	v_sub_nc_u32_e32 v5, v5, v7
	v_mul_lo_u32 v7, v13, s22
	v_mul_lo_u32 v21, s25, v5
	v_ashrrev_i32_e32 v5, 31, v4
	v_subrev_nc_u32_e32 v20, s37, v7
	v_ashrrev_i32_e32 v7, 31, v6
	v_lshlrev_b64 v[4:5], 2, v[4:5]
	v_ashrrev_i32_e32 v22, 31, v21
	v_mul_lo_u32 v27, s55, v20
	v_lshlrev_b64 v[6:7], 2, v[6:7]
	v_add_co_u32 v17, vcc_lo, s38, v4
	v_lshlrev_b64 v[21:22], 2, v[21:22]
	v_add_co_ci_u32_e64 v29, null, s39, v5, vcc_lo
	v_lshlrev_b64 v[4:5], 2, v[23:24]
	v_ashrrev_i32_e32 v28, 31, v27
	v_add_co_u32 v17, vcc_lo, v17, v21
	v_add_co_ci_u32_e64 v23, null, v29, v22, vcc_lo
	v_lshlrev_b64 v[21:22], 2, v[25:26]
	v_add_co_u32 v4, vcc_lo, v17, v4
	v_add_co_ci_u32_e64 v5, null, v23, v5, vcc_lo
	v_lshlrev_b64 v[23:24], 2, v[27:28]
	v_add_co_u32 v17, vcc_lo, v4, v21
	v_add_co_ci_u32_e64 v21, null, v5, v22, vcc_lo
	s_waitcnt lgkmcnt(0)
	v_add_co_u32 v4, vcc_lo, s42, v6
	v_add_co_ci_u32_e64 v5, null, s43, v7, vcc_lo
	v_add_co_u32 v6, vcc_lo, v17, v23
	v_add_co_ci_u32_e64 v7, null, v21, v24, vcc_lo
	v_mov_b32_e32 v17, 0
	s_branch .LBB4_6
.LBB4_5:                                ;   in Loop: Header=BB4_6 Depth=2
	s_inst_prefetch 0x2
	v_add_co_u32 v6, vcc_lo, v6, s46
	v_add_co_ci_u32_e64 v7, null, s47, v7, vcc_lo
	s_add_i32 s3, s3, 1
	s_cmp_eq_u32 s3, s16
	s_cbranch_scc1 .LBB4_15
.LBB4_6:                                ;   Parent Loop BB4_3 Depth=1
                                        ; =>  This Loop Header: Depth=2
                                        ;       Child Loop BB4_9 Depth 3
                                        ;         Child Loop BB4_12 Depth 4
	s_andn2_b32 vcc_lo, exec_lo, s48
	s_cbranch_vccnz .LBB4_5
; %bb.7:                                ;   in Loop: Header=BB4_6 Depth=2
	v_add_nc_u32_e32 v21, s3, v18
	s_mov_b32 s62, 0
	v_cmp_lt_i32_e64 s0, -1, v21
	v_cmp_gt_i32_e64 s1, s9, v21
	s_inst_prefetch 0x1
	s_branch .LBB4_9
	.p2align	6
.LBB4_8:                                ;   in Loop: Header=BB4_9 Depth=3
	v_add_co_u32 v6, vcc_lo, v6, s44
	v_add_co_ci_u32_e64 v7, null, s45, v7, vcc_lo
	s_add_i32 s62, s62, 1
	s_cmp_eq_u32 s62, s17
	s_cbranch_scc1 .LBB4_5
.LBB4_9:                                ;   Parent Loop BB4_3 Depth=1
                                        ;     Parent Loop BB4_6 Depth=2
                                        ; =>    This Loop Header: Depth=3
                                        ;         Child Loop BB4_12 Depth 4
	s_andn2_b32 vcc_lo, exec_lo, s49
	s_cbranch_vccnz .LBB4_8
; %bb.10:                               ;   in Loop: Header=BB4_9 Depth=3
	v_add_nc_u32_e32 v22, s62, v19
	v_mov_b32_e32 v21, v20
	s_mov_b32 s64, s18
	v_cmp_lt_i32_e64 s2, -1, v22
	v_cmp_gt_i32_e32 vcc_lo, s10, v22
	s_and_b32 s63, s0, s2
	s_branch .LBB4_12
	.p2align	6
.LBB4_11:                               ;   in Loop: Header=BB4_12 Depth=4
	s_or_b32 exec_lo, exec_lo, s2
	v_add_co_u32 v4, s2, v4, 4
	v_add_co_ci_u32_e64 v5, null, 0, v5, s2
	v_add_co_u32 v6, s2, v6, 4
	v_add_co_ci_u32_e64 v7, null, 0, v7, s2
	v_add_nc_u32_e32 v21, 1, v21
	s_add_i32 s64, s64, -1
	s_cmp_eq_u32 s64, 0
	s_cbranch_scc1 .LBB4_8
.LBB4_12:                               ;   Parent Loop BB4_3 Depth=1
                                        ;     Parent Loop BB4_6 Depth=2
                                        ;       Parent Loop BB4_9 Depth=3
                                        ; =>      This Inner Loop Header: Depth=4
	v_cmp_lt_i32_e64 s2, -1, v21
	s_and_b32 s65, s63, s2
	v_cmp_gt_i32_e64 s2, s11, v21
	s_and_b32 s65, s65, s1
	s_and_b32 s65, s65, vcc_lo
	s_and_b32 s65, s65, s2
	s_and_saveexec_b32 s2, s65
	s_cbranch_execz .LBB4_11
; %bb.13:                               ;   in Loop: Header=BB4_12 Depth=4
	global_load_dword v22, v[4:5], off
	global_load_dword v23, v[6:7], off
	s_waitcnt vmcnt(0)
	v_fmac_f32_e32 v17, v22, v23
	s_branch .LBB4_11
.LBB4_14:                               ;   in Loop: Header=BB4_3 Depth=1
	v_mov_b32_e32 v17, 0
.LBB4_15:                               ;   in Loop: Header=BB4_3 Depth=1
	s_and_b32 vcc_lo, exec_lo, s50
	s_cbranch_vccz .LBB4_2
; %bb.16:                               ;   in Loop: Header=BB4_3 Depth=1
	v_lshlrev_b64 v[3:4], 2, v[2:3]
	v_add_co_u32 v3, vcc_lo, s34, v3
	v_add_co_ci_u32_e64 v4, null, s35, v4, vcc_lo
	global_load_dword v3, v[3:4], off
	s_waitcnt vmcnt(0)
	v_add_f32_e32 v17, v17, v3
	s_branch .LBB4_2
.LBB4_17:
	s_endpgm
	.section	.rodata,"a",@progbits
	.p2align	6, 0x0
	.amdhsa_kernel _ZN2at6native12_GLOBAL__N_128conv_depthwise3d_cuda_kernelIffLin1ELin1ELin1ELi1ELi1ELi1EEEvN5torch10headeronly6detail27GenericPackedTensorAccessorINS5_14TensorAccessorIN3c108ArrayRefIlEEKT_Lm4ENS4_16DefaultPtrTraitsEiEENS_6detail16IndexBoundsCheckILm5EiEESC_Lm5ESD_iEENS6_INS7_ISA_SB_Lm4ESD_iEESH_SB_Lm5ESD_iEESI_PSC_iiiiiiiii
		.amdhsa_group_segment_fixed_size 0
		.amdhsa_private_segment_fixed_size 0
		.amdhsa_kernarg_size 448
		.amdhsa_user_sgpr_count 6
		.amdhsa_user_sgpr_private_segment_buffer 1
		.amdhsa_user_sgpr_dispatch_ptr 0
		.amdhsa_user_sgpr_queue_ptr 0
		.amdhsa_user_sgpr_kernarg_segment_ptr 1
		.amdhsa_user_sgpr_dispatch_id 0
		.amdhsa_user_sgpr_flat_scratch_init 0
		.amdhsa_user_sgpr_private_segment_size 0
		.amdhsa_wavefront_size32 1
		.amdhsa_uses_dynamic_stack 0
		.amdhsa_system_sgpr_private_segment_wavefront_offset 0
		.amdhsa_system_sgpr_workgroup_id_x 1
		.amdhsa_system_sgpr_workgroup_id_y 0
		.amdhsa_system_sgpr_workgroup_id_z 0
		.amdhsa_system_sgpr_workgroup_info 0
		.amdhsa_system_vgpr_workitem_id 0
		.amdhsa_next_free_vgpr 30
		.amdhsa_next_free_sgpr 66
		.amdhsa_reserve_vcc 1
		.amdhsa_reserve_flat_scratch 0
		.amdhsa_float_round_mode_32 0
		.amdhsa_float_round_mode_16_64 0
		.amdhsa_float_denorm_mode_32 3
		.amdhsa_float_denorm_mode_16_64 3
		.amdhsa_dx10_clamp 1
		.amdhsa_ieee_mode 1
		.amdhsa_fp16_overflow 0
		.amdhsa_workgroup_processor_mode 1
		.amdhsa_memory_ordered 1
		.amdhsa_forward_progress 1
		.amdhsa_shared_vgpr_count 0
		.amdhsa_exception_fp_ieee_invalid_op 0
		.amdhsa_exception_fp_denorm_src 0
		.amdhsa_exception_fp_ieee_div_zero 0
		.amdhsa_exception_fp_ieee_overflow 0
		.amdhsa_exception_fp_ieee_underflow 0
		.amdhsa_exception_fp_ieee_inexact 0
		.amdhsa_exception_int_div_zero 0
	.end_amdhsa_kernel
	.section	.text._ZN2at6native12_GLOBAL__N_128conv_depthwise3d_cuda_kernelIffLin1ELin1ELin1ELi1ELi1ELi1EEEvN5torch10headeronly6detail27GenericPackedTensorAccessorINS5_14TensorAccessorIN3c108ArrayRefIlEEKT_Lm4ENS4_16DefaultPtrTraitsEiEENS_6detail16IndexBoundsCheckILm5EiEESC_Lm5ESD_iEENS6_INS7_ISA_SB_Lm4ESD_iEESH_SB_Lm5ESD_iEESI_PSC_iiiiiiiii,"axG",@progbits,_ZN2at6native12_GLOBAL__N_128conv_depthwise3d_cuda_kernelIffLin1ELin1ELin1ELi1ELi1ELi1EEEvN5torch10headeronly6detail27GenericPackedTensorAccessorINS5_14TensorAccessorIN3c108ArrayRefIlEEKT_Lm4ENS4_16DefaultPtrTraitsEiEENS_6detail16IndexBoundsCheckILm5EiEESC_Lm5ESD_iEENS6_INS7_ISA_SB_Lm4ESD_iEESH_SB_Lm5ESD_iEESI_PSC_iiiiiiiii,comdat
.Lfunc_end4:
	.size	_ZN2at6native12_GLOBAL__N_128conv_depthwise3d_cuda_kernelIffLin1ELin1ELin1ELi1ELi1ELi1EEEvN5torch10headeronly6detail27GenericPackedTensorAccessorINS5_14TensorAccessorIN3c108ArrayRefIlEEKT_Lm4ENS4_16DefaultPtrTraitsEiEENS_6detail16IndexBoundsCheckILm5EiEESC_Lm5ESD_iEENS6_INS7_ISA_SB_Lm4ESD_iEESH_SB_Lm5ESD_iEESI_PSC_iiiiiiiii, .Lfunc_end4-_ZN2at6native12_GLOBAL__N_128conv_depthwise3d_cuda_kernelIffLin1ELin1ELin1ELi1ELi1ELi1EEEvN5torch10headeronly6detail27GenericPackedTensorAccessorINS5_14TensorAccessorIN3c108ArrayRefIlEEKT_Lm4ENS4_16DefaultPtrTraitsEiEENS_6detail16IndexBoundsCheckILm5EiEESC_Lm5ESD_iEENS6_INS7_ISA_SB_Lm4ESD_iEESH_SB_Lm5ESD_iEESI_PSC_iiiiiiiii
                                        ; -- End function
	.set _ZN2at6native12_GLOBAL__N_128conv_depthwise3d_cuda_kernelIffLin1ELin1ELin1ELi1ELi1ELi1EEEvN5torch10headeronly6detail27GenericPackedTensorAccessorINS5_14TensorAccessorIN3c108ArrayRefIlEEKT_Lm4ENS4_16DefaultPtrTraitsEiEENS_6detail16IndexBoundsCheckILm5EiEESC_Lm5ESD_iEENS6_INS7_ISA_SB_Lm4ESD_iEESH_SB_Lm5ESD_iEESI_PSC_iiiiiiiii.num_vgpr, 30
	.set _ZN2at6native12_GLOBAL__N_128conv_depthwise3d_cuda_kernelIffLin1ELin1ELin1ELi1ELi1ELi1EEEvN5torch10headeronly6detail27GenericPackedTensorAccessorINS5_14TensorAccessorIN3c108ArrayRefIlEEKT_Lm4ENS4_16DefaultPtrTraitsEiEENS_6detail16IndexBoundsCheckILm5EiEESC_Lm5ESD_iEENS6_INS7_ISA_SB_Lm4ESD_iEESH_SB_Lm5ESD_iEESI_PSC_iiiiiiiii.num_agpr, 0
	.set _ZN2at6native12_GLOBAL__N_128conv_depthwise3d_cuda_kernelIffLin1ELin1ELin1ELi1ELi1ELi1EEEvN5torch10headeronly6detail27GenericPackedTensorAccessorINS5_14TensorAccessorIN3c108ArrayRefIlEEKT_Lm4ENS4_16DefaultPtrTraitsEiEENS_6detail16IndexBoundsCheckILm5EiEESC_Lm5ESD_iEENS6_INS7_ISA_SB_Lm4ESD_iEESH_SB_Lm5ESD_iEESI_PSC_iiiiiiiii.numbered_sgpr, 66
	.set _ZN2at6native12_GLOBAL__N_128conv_depthwise3d_cuda_kernelIffLin1ELin1ELin1ELi1ELi1ELi1EEEvN5torch10headeronly6detail27GenericPackedTensorAccessorINS5_14TensorAccessorIN3c108ArrayRefIlEEKT_Lm4ENS4_16DefaultPtrTraitsEiEENS_6detail16IndexBoundsCheckILm5EiEESC_Lm5ESD_iEENS6_INS7_ISA_SB_Lm4ESD_iEESH_SB_Lm5ESD_iEESI_PSC_iiiiiiiii.num_named_barrier, 0
	.set _ZN2at6native12_GLOBAL__N_128conv_depthwise3d_cuda_kernelIffLin1ELin1ELin1ELi1ELi1ELi1EEEvN5torch10headeronly6detail27GenericPackedTensorAccessorINS5_14TensorAccessorIN3c108ArrayRefIlEEKT_Lm4ENS4_16DefaultPtrTraitsEiEENS_6detail16IndexBoundsCheckILm5EiEESC_Lm5ESD_iEENS6_INS7_ISA_SB_Lm4ESD_iEESH_SB_Lm5ESD_iEESI_PSC_iiiiiiiii.private_seg_size, 0
	.set _ZN2at6native12_GLOBAL__N_128conv_depthwise3d_cuda_kernelIffLin1ELin1ELin1ELi1ELi1ELi1EEEvN5torch10headeronly6detail27GenericPackedTensorAccessorINS5_14TensorAccessorIN3c108ArrayRefIlEEKT_Lm4ENS4_16DefaultPtrTraitsEiEENS_6detail16IndexBoundsCheckILm5EiEESC_Lm5ESD_iEENS6_INS7_ISA_SB_Lm4ESD_iEESH_SB_Lm5ESD_iEESI_PSC_iiiiiiiii.uses_vcc, 1
	.set _ZN2at6native12_GLOBAL__N_128conv_depthwise3d_cuda_kernelIffLin1ELin1ELin1ELi1ELi1ELi1EEEvN5torch10headeronly6detail27GenericPackedTensorAccessorINS5_14TensorAccessorIN3c108ArrayRefIlEEKT_Lm4ENS4_16DefaultPtrTraitsEiEENS_6detail16IndexBoundsCheckILm5EiEESC_Lm5ESD_iEENS6_INS7_ISA_SB_Lm4ESD_iEESH_SB_Lm5ESD_iEESI_PSC_iiiiiiiii.uses_flat_scratch, 0
	.set _ZN2at6native12_GLOBAL__N_128conv_depthwise3d_cuda_kernelIffLin1ELin1ELin1ELi1ELi1ELi1EEEvN5torch10headeronly6detail27GenericPackedTensorAccessorINS5_14TensorAccessorIN3c108ArrayRefIlEEKT_Lm4ENS4_16DefaultPtrTraitsEiEENS_6detail16IndexBoundsCheckILm5EiEESC_Lm5ESD_iEENS6_INS7_ISA_SB_Lm4ESD_iEESH_SB_Lm5ESD_iEESI_PSC_iiiiiiiii.has_dyn_sized_stack, 0
	.set _ZN2at6native12_GLOBAL__N_128conv_depthwise3d_cuda_kernelIffLin1ELin1ELin1ELi1ELi1ELi1EEEvN5torch10headeronly6detail27GenericPackedTensorAccessorINS5_14TensorAccessorIN3c108ArrayRefIlEEKT_Lm4ENS4_16DefaultPtrTraitsEiEENS_6detail16IndexBoundsCheckILm5EiEESC_Lm5ESD_iEENS6_INS7_ISA_SB_Lm4ESD_iEESH_SB_Lm5ESD_iEESI_PSC_iiiiiiiii.has_recursion, 0
	.set _ZN2at6native12_GLOBAL__N_128conv_depthwise3d_cuda_kernelIffLin1ELin1ELin1ELi1ELi1ELi1EEEvN5torch10headeronly6detail27GenericPackedTensorAccessorINS5_14TensorAccessorIN3c108ArrayRefIlEEKT_Lm4ENS4_16DefaultPtrTraitsEiEENS_6detail16IndexBoundsCheckILm5EiEESC_Lm5ESD_iEENS6_INS7_ISA_SB_Lm4ESD_iEESH_SB_Lm5ESD_iEESI_PSC_iiiiiiiii.has_indirect_call, 0
	.section	.AMDGPU.csdata,"",@progbits
; Kernel info:
; codeLenInByte = 1972
; TotalNumSgprs: 68
; NumVgprs: 30
; ScratchSize: 0
; MemoryBound: 0
; FloatMode: 240
; IeeeMode: 1
; LDSByteSize: 0 bytes/workgroup (compile time only)
; SGPRBlocks: 0
; VGPRBlocks: 3
; NumSGPRsForWavesPerEU: 68
; NumVGPRsForWavesPerEU: 30
; Occupancy: 16
; WaveLimiterHint : 0
; COMPUTE_PGM_RSRC2:SCRATCH_EN: 0
; COMPUTE_PGM_RSRC2:USER_SGPR: 6
; COMPUTE_PGM_RSRC2:TRAP_HANDLER: 0
; COMPUTE_PGM_RSRC2:TGID_X_EN: 1
; COMPUTE_PGM_RSRC2:TGID_Y_EN: 0
; COMPUTE_PGM_RSRC2:TGID_Z_EN: 0
; COMPUTE_PGM_RSRC2:TIDIG_COMP_CNT: 0
	.section	.text._ZN2at6native12_GLOBAL__N_128conv_depthwise3d_cuda_kernelIffLin1ELin1ELin1ELin1ELin1ELin1EEEvN5torch10headeronly6detail27GenericPackedTensorAccessorINS5_14TensorAccessorIN3c108ArrayRefIlEEKT_Lm4ENS4_16DefaultPtrTraitsEiEENS_6detail16IndexBoundsCheckILm5EiEESC_Lm5ESD_iEENS6_INS7_ISA_SB_Lm4ESD_iEESH_SB_Lm5ESD_iEESI_PSC_iiiiiiiii,"axG",@progbits,_ZN2at6native12_GLOBAL__N_128conv_depthwise3d_cuda_kernelIffLin1ELin1ELin1ELin1ELin1ELin1EEEvN5torch10headeronly6detail27GenericPackedTensorAccessorINS5_14TensorAccessorIN3c108ArrayRefIlEEKT_Lm4ENS4_16DefaultPtrTraitsEiEENS_6detail16IndexBoundsCheckILm5EiEESC_Lm5ESD_iEENS6_INS7_ISA_SB_Lm4ESD_iEESH_SB_Lm5ESD_iEESI_PSC_iiiiiiiii,comdat
	.globl	_ZN2at6native12_GLOBAL__N_128conv_depthwise3d_cuda_kernelIffLin1ELin1ELin1ELin1ELin1ELin1EEEvN5torch10headeronly6detail27GenericPackedTensorAccessorINS5_14TensorAccessorIN3c108ArrayRefIlEEKT_Lm4ENS4_16DefaultPtrTraitsEiEENS_6detail16IndexBoundsCheckILm5EiEESC_Lm5ESD_iEENS6_INS7_ISA_SB_Lm4ESD_iEESH_SB_Lm5ESD_iEESI_PSC_iiiiiiiii ; -- Begin function _ZN2at6native12_GLOBAL__N_128conv_depthwise3d_cuda_kernelIffLin1ELin1ELin1ELin1ELin1ELin1EEEvN5torch10headeronly6detail27GenericPackedTensorAccessorINS5_14TensorAccessorIN3c108ArrayRefIlEEKT_Lm4ENS4_16DefaultPtrTraitsEiEENS_6detail16IndexBoundsCheckILm5EiEESC_Lm5ESD_iEENS6_INS7_ISA_SB_Lm4ESD_iEESH_SB_Lm5ESD_iEESI_PSC_iiiiiiiii
	.p2align	8
	.type	_ZN2at6native12_GLOBAL__N_128conv_depthwise3d_cuda_kernelIffLin1ELin1ELin1ELin1ELin1ELin1EEEvN5torch10headeronly6detail27GenericPackedTensorAccessorINS5_14TensorAccessorIN3c108ArrayRefIlEEKT_Lm4ENS4_16DefaultPtrTraitsEiEENS_6detail16IndexBoundsCheckILm5EiEESC_Lm5ESD_iEENS6_INS7_ISA_SB_Lm4ESD_iEESH_SB_Lm5ESD_iEESI_PSC_iiiiiiiii,@function
_ZN2at6native12_GLOBAL__N_128conv_depthwise3d_cuda_kernelIffLin1ELin1ELin1ELin1ELin1ELin1EEEvN5torch10headeronly6detail27GenericPackedTensorAccessorINS5_14TensorAccessorIN3c108ArrayRefIlEEKT_Lm4ENS4_16DefaultPtrTraitsEiEENS_6detail16IndexBoundsCheckILm5EiEESC_Lm5ESD_iEENS6_INS7_ISA_SB_Lm4ESD_iEESH_SB_Lm5ESD_iEESI_PSC_iiiiiiiii: ; @_ZN2at6native12_GLOBAL__N_128conv_depthwise3d_cuda_kernelIffLin1ELin1ELin1ELin1ELin1ELin1EEEvN5torch10headeronly6detail27GenericPackedTensorAccessorINS5_14TensorAccessorIN3c108ArrayRefIlEEKT_Lm4ENS4_16DefaultPtrTraitsEiEENS_6detail16IndexBoundsCheckILm5EiEESC_Lm5ESD_iEENS6_INS7_ISA_SB_Lm4ESD_iEESH_SB_Lm5ESD_iEESI_PSC_iiiiiiiii
; %bb.0:
	s_clause 0x3
	s_load_dwordx4 s[16:19], s[4:5], 0xc
	s_load_dword s3, s[4:5], 0xcc
	s_load_dwordx4 s[20:23], s[4:5], 0x38
	s_load_dwordx2 s[34:35], s[4:5], 0x48
	s_waitcnt lgkmcnt(0)
	s_abs_i32 s2, s16
	s_add_u32 s0, s4, 0xc0
	v_cvt_f32_u32_e32 v1, s2
	s_addc_u32 s1, s5, 0
	s_and_b32 s48, s3, 0xffff
	s_mul_i32 s36, s35, s20
	s_ashr_i32 s37, s36, 31
	v_rcp_iflag_f32_e32 v2, v1
	v_mov_b32_e32 v1, 0
	v_mad_u64_u32 v[0:1], null, s48, s6, v[0:1]
	s_mov_b32 s6, exec_lo
	v_mul_f32_e32 v2, 0x4f7ffffe, v2
	v_cvt_u32_f32_e32 v2, v2
	v_readfirstlane_b32 s3, v2
	v_cmpx_gt_i64_e64 s[36:37], v[0:1]
	s_cbranch_execz .LBB5_17
; %bb.1:
	s_sub_i32 s6, 0, s2
	s_ashr_i32 s7, s16, 31
	s_mul_i32 s6, s6, s3
	s_abs_i32 s16, s21
	s_mul_hi_u32 s6, s3, s6
	s_clause 0x1
	s_load_dwordx4 s[24:27], s[4:5], 0x70
	s_load_dwordx2 s[40:41], s[4:5], 0x90
	s_add_i32 s3, s3, s6
	s_load_dwordx8 s[8:15], s[4:5], 0x98
	s_mul_hi_u32 s3, s16, s3
	s_ashr_i32 s20, s21, 31
	s_mul_i32 s6, s3, s2
	s_load_dword s38, s[4:5], 0xb8
	s_sub_i32 s6, s16, s6
	s_xor_b32 s7, s20, s7
	s_waitcnt lgkmcnt(0)
	s_add_i32 s27, s3, 1
	s_sub_i32 s28, s6, s2
	s_cmp_ge_u32 s6, s2
	v_cvt_f32_u32_e32 v5, s16
	s_cselect_b32 s3, s27, s3
	s_cselect_b32 s6, s28, s6
	s_add_i32 s27, s3, 1
	s_cmp_ge_u32 s6, s2
	v_rcp_iflag_f32_e32 v5, v5
	s_cselect_b32 s2, s27, s3
	s_load_dword s0, s[0:1], 0x0
	s_xor_b32 s2, s2, s7
	s_load_dword s27, s[4:5], 0x7c
	s_sub_i32 s49, s2, s7
	s_cmp_gt_i32 s24, 0
	s_mul_i32 s3, s18, s14
	s_cselect_b32 s33, -1, 0
	s_cmp_gt_i32 s25, 0
	s_mul_i32 s6, s25, s15
	s_cselect_b32 s54, -1, 0
	;; [unrolled: 3-line block ×3, first 2 shown]
	s_mul_i32 s7, s26, s38
	s_sub_i32 s3, s3, s6
	s_sub_i32 s2, s2, s7
	s_mul_i32 s52, s3, s19
	s_ashr_i32 s39, s38, 31
	s_ashr_i32 s3, s2, 31
	;; [unrolled: 1-line block ×3, first 2 shown]
	s_cmp_lg_u64 s[40:41], 0
	v_mul_f32_e32 v5, 0x4f7ffffe, v5
	s_cselect_b32 s56, -1, 0
	s_abs_i32 s57, s34
	s_abs_i32 s58, s23
	v_cvt_f32_u32_e32 v2, s57
	s_abs_i32 s60, s22
	v_cvt_f32_u32_e32 v3, s58
	v_cvt_f32_u32_e32 v4, s60
	s_abs_i32 s61, s49
	v_rcp_iflag_f32_e32 v2, v2
	v_cvt_f32_u32_e32 v6, s61
	v_rcp_iflag_f32_e32 v3, v3
	v_rcp_iflag_f32_e32 v4, v4
	s_sub_i32 s1, 0, s57
	v_cvt_u32_f32_e32 v5, v5
	v_rcp_iflag_f32_e32 v6, v6
	s_sub_i32 s6, 0, s58
	s_clause 0x3
	s_load_dwordx2 s[42:43], s[4:5], 0x0
	s_load_dwordx4 s[28:31], s[4:5], 0x1c
	s_load_dword s62, s[4:5], 0x2c
	s_load_dwordx2 s[44:45], s[4:5], 0x30
	v_mul_f32_e32 v2, 0x4f7ffffe, v2
	s_mov_b32 s59, 0
	v_mul_f32_e32 v3, 0x4f7ffffe, v3
	v_mul_f32_e32 v4, 0x4f7ffffe, v4
	s_waitcnt lgkmcnt(0)
	s_mul_i32 s63, s0, s48
	v_cvt_u32_f32_e32 v2, v2
	v_mul_f32_e32 v6, 0x4f7ffffe, v6
	v_cvt_u32_f32_e32 v3, v3
	v_cvt_u32_f32_e32 v4, v4
	s_ashr_i32 s64, s34, 31
	v_mul_lo_u32 v7, s1, v2
	v_cvt_u32_f32_e32 v6, v6
	s_sub_i32 s1, 0, s60
	v_mul_lo_u32 v8, s6, v3
	s_sub_i32 s6, 0, s16
	v_mul_lo_u32 v9, s1, v4
	;; [unrolled: 2-line block ×3, first 2 shown]
	v_mul_lo_u32 v11, s1, v6
	s_clause 0x1
	s_load_dwordx2 s[46:47], s[4:5], 0x60
	s_load_dwordx4 s[4:7], s[4:5], 0x50
	v_mul_hi_u32 v7, v2, v7
	v_mul_hi_u32 v8, v3, v8
	s_ashr_i32 s65, s23, 31
	v_mul_hi_u32 v9, v4, v9
	s_ashr_i32 s66, s22, 31
	v_mul_hi_u32 v13, v5, v10
	v_mul_hi_u32 v14, v6, v11
	s_ashr_i32 s67, s49, 31
	v_add_nc_u32_e32 v10, v2, v7
	v_add_nc_u32_e32 v11, v3, v8
	s_lshl_b64 s[48:49], s[38:39], 2
	v_add_nc_u32_e32 v12, v4, v9
	s_lshl_b64 s[50:51], s[2:3], 2
	v_add_nc_u32_e32 v13, v5, v13
	v_add_nc_u32_e32 v14, v6, v14
	s_lshl_b64 s[52:53], s[52:53], 2
	s_branch .LBB5_3
.LBB5_2:                                ;   in Loop: Header=BB5_3 Depth=1
	v_mul_lo_u32 v3, v18, s35
	s_waitcnt lgkmcnt(0)
	v_mul_lo_u32 v5, s4, v2
	v_mul_lo_u32 v2, s5, v17
	;; [unrolled: 1-line block ×3, first 2 shown]
	v_add_co_u32 v0, vcc_lo, v0, s63
	v_add_co_ci_u32_e64 v1, null, 0, v1, vcc_lo
	v_ashrrev_i32_e32 v4, 31, v3
	v_ashrrev_i32_e32 v6, 31, v5
	v_mul_lo_u32 v15, s7, v15
	v_ashrrev_i32_e32 v8, 31, v7
	v_lshlrev_b64 v[17:18], 2, v[3:4]
	v_ashrrev_i32_e32 v3, 31, v2
	v_lshlrev_b64 v[4:5], 2, v[5:6]
	v_ashrrev_i32_e32 v16, 31, v15
	v_add_co_u32 v6, vcc_lo, s44, v17
	v_add_co_ci_u32_e64 v9, null, s45, v18, vcc_lo
	v_lshlrev_b64 v[2:3], 2, v[2:3]
	v_add_co_u32 v6, vcc_lo, v6, v4
	v_add_co_ci_u32_e64 v9, null, v9, v5, vcc_lo
	v_lshlrev_b64 v[4:5], 2, v[7:8]
	;; [unrolled: 3-line block ×3, first 2 shown]
	v_add_co_u32 v4, vcc_lo, v6, v4
	v_add_co_ci_u32_e64 v5, null, v7, v5, vcc_lo
	v_cmp_le_i64_e32 vcc_lo, s[36:37], v[0:1]
	v_add_co_u32 v2, s0, v4, v2
	v_add_co_ci_u32_e64 v3, null, v5, v3, s0
	s_or_b32 s59, vcc_lo, s59
	global_store_dword v[2:3], v19, off
	s_andn2_b32 exec_lo, exec_lo, s59
	s_cbranch_execz .LBB5_17
.LBB5_3:                                ; =>This Loop Header: Depth=1
                                        ;     Child Loop BB5_6 Depth 2
                                        ;       Child Loop BB5_9 Depth 3
                                        ;         Child Loop BB5_12 Depth 4
	v_sub_nc_u32_e32 v2, 0, v0
	v_max_i32_e32 v2, v0, v2
	v_mul_hi_u32 v3, v2, v10
	v_mul_lo_u32 v4, v3, s57
	v_sub_nc_u32_e32 v2, v2, v4
	v_add_nc_u32_e32 v4, 1, v3
	v_subrev_nc_u32_e32 v5, s57, v2
	v_cmp_le_u32_e32 vcc_lo, s57, v2
	v_cndmask_b32_e32 v3, v3, v4, vcc_lo
	v_cndmask_b32_e32 v2, v2, v5, vcc_lo
	v_ashrrev_i32_e32 v4, 31, v0
	v_add_nc_u32_e32 v5, 1, v3
	v_cmp_le_u32_e32 vcc_lo, s57, v2
	v_xor_b32_e32 v4, s64, v4
	v_cndmask_b32_e32 v2, v3, v5, vcc_lo
	v_xor_b32_e32 v2, v2, v4
	v_sub_nc_u32_e32 v3, v2, v4
	v_sub_nc_u32_e32 v2, 0, v3
	v_max_i32_e32 v2, v3, v2
	v_mul_hi_u32 v4, v2, v11
	v_mul_lo_u32 v5, v4, s58
	v_sub_nc_u32_e32 v2, v2, v5
	v_add_nc_u32_e32 v5, 1, v4
	v_subrev_nc_u32_e32 v6, s58, v2
	v_cmp_le_u32_e32 vcc_lo, s58, v2
	v_cndmask_b32_e32 v4, v4, v5, vcc_lo
	v_cndmask_b32_e32 v2, v2, v6, vcc_lo
	v_ashrrev_i32_e32 v5, 31, v3
	v_add_nc_u32_e32 v6, 1, v4
	v_cmp_le_u32_e32 vcc_lo, s58, v2
	v_xor_b32_e32 v5, s65, v5
	v_cndmask_b32_e32 v2, v4, v6, vcc_lo
	v_xor_b32_e32 v2, v2, v5
	v_sub_nc_u32_e32 v4, v2, v5
	;; [unrolled: 17-line block ×3, first 2 shown]
	v_sub_nc_u32_e32 v5, 0, v2
	v_max_i32_e32 v5, v2, v5
	v_mul_hi_u32 v6, v5, v13
	v_mul_lo_u32 v7, v6, s16
	v_sub_nc_u32_e32 v5, v5, v7
	v_add_nc_u32_e32 v7, 1, v6
	v_subrev_nc_u32_e32 v8, s16, v5
	v_cmp_le_u32_e32 vcc_lo, s16, v5
	v_cndmask_b32_e32 v6, v6, v7, vcc_lo
	v_cndmask_b32_e32 v5, v5, v8, vcc_lo
	v_ashrrev_i32_e32 v7, 31, v2
	v_add_nc_u32_e32 v8, 1, v6
	v_cmp_le_u32_e32 vcc_lo, s16, v5
	v_xor_b32_e32 v7, s20, v7
	v_cndmask_b32_e32 v5, v6, v8, vcc_lo
	v_mul_lo_u32 v6, v3, s34
	v_mul_lo_u32 v8, v2, s22
	s_andn2_b32 vcc_lo, exec_lo, s33
	v_xor_b32_e32 v5, v5, v7
	v_sub_nc_u32_e32 v15, v0, v6
	v_sub_nc_u32_e32 v18, v5, v7
	v_mul_lo_u32 v7, v4, s23
	v_sub_nc_u32_e32 v17, v4, v8
	v_mul_lo_u32 v5, v18, s21
	v_sub_nc_u32_e32 v16, v3, v7
	v_sub_nc_u32_e32 v2, v2, v5
	v_ashrrev_i32_e32 v3, 31, v2
	s_cbranch_vccnz .LBB5_14
; %bb.4:                                ;   in Loop: Header=BB5_3 Depth=1
	v_sub_nc_u32_e32 v4, 0, v2
	v_mul_lo_u32 v9, v16, s9
	v_mul_lo_u32 v19, v15, s10
	;; [unrolled: 1-line block ×3, first 2 shown]
	s_mov_b32 s3, 0
	v_max_i32_e32 v4, v2, v4
	v_subrev_nc_u32_e32 v20, s13, v19
	v_mul_hi_u32 v5, v4, v14
	v_mul_lo_u32 v27, s62, v20
	v_mul_lo_u32 v6, v5, s61
	v_ashrrev_i32_e32 v28, 31, v27
	v_sub_nc_u32_e32 v4, v4, v6
	v_add_nc_u32_e32 v6, 1, v5
	v_subrev_nc_u32_e32 v7, s61, v4
	v_cmp_le_u32_e32 vcc_lo, s61, v4
	v_cndmask_b32_e32 v5, v5, v6, vcc_lo
	v_cndmask_b32_e32 v4, v4, v7, vcc_lo
	v_xor_b32_e32 v7, s67, v3
	v_add_nc_u32_e32 v6, 1, v5
	v_cmp_le_u32_e32 vcc_lo, s61, v4
	v_cndmask_b32_e32 v4, v5, v6, vcc_lo
	v_mul_lo_u32 v5, v17, s8
	v_mul_lo_u32 v6, s28, v18
	v_xor_b32_e32 v4, v4, v7
	v_sub_nc_u32_e32 v7, v4, v7
	v_subrev_nc_u32_e32 v4, s11, v5
	v_subrev_nc_u32_e32 v5, s12, v9
	v_ashrrev_i32_e32 v9, 31, v8
	v_mul_lo_u32 v21, s29, v7
	v_ashrrev_i32_e32 v7, 31, v6
	v_mul_lo_u32 v23, s30, v4
	v_mul_lo_u32 v25, s31, v5
	v_lshlrev_b64 v[8:9], 2, v[8:9]
	v_lshlrev_b64 v[6:7], 2, v[6:7]
	v_ashrrev_i32_e32 v22, 31, v21
	v_ashrrev_i32_e32 v24, 31, v23
	;; [unrolled: 1-line block ×3, first 2 shown]
	v_add_co_u32 v19, vcc_lo, s42, v6
	v_lshlrev_b64 v[21:22], 2, v[21:22]
	v_add_co_ci_u32_e64 v29, null, s43, v7, vcc_lo
	v_lshlrev_b64 v[6:7], 2, v[23:24]
	v_add_co_u32 v19, vcc_lo, v19, v21
	v_add_co_ci_u32_e64 v23, null, v29, v22, vcc_lo
	v_lshlrev_b64 v[21:22], 2, v[25:26]
	v_add_co_u32 v6, vcc_lo, v19, v6
	;; [unrolled: 3-line block ×3, first 2 shown]
	v_add_co_ci_u32_e64 v21, null, v7, v22, vcc_lo
	s_waitcnt lgkmcnt(0)
	v_add_co_u32 v6, vcc_lo, s46, v8
	v_add_co_ci_u32_e64 v7, null, s47, v9, vcc_lo
	v_add_co_u32 v8, vcc_lo, v19, v23
	v_add_co_ci_u32_e64 v9, null, v21, v24, vcc_lo
	v_mov_b32_e32 v19, 0
	s_branch .LBB5_6
.LBB5_5:                                ;   in Loop: Header=BB5_6 Depth=2
	s_inst_prefetch 0x2
	v_add_co_u32 v8, vcc_lo, v8, s52
	v_add_co_ci_u32_e64 v9, null, s53, v9, vcc_lo
	s_add_i32 s3, s3, 1
	s_cmp_eq_u32 s3, s24
	s_cbranch_scc1 .LBB5_15
.LBB5_6:                                ;   Parent Loop BB5_3 Depth=1
                                        ; =>  This Loop Header: Depth=2
                                        ;       Child Loop BB5_9 Depth 3
                                        ;         Child Loop BB5_12 Depth 4
	s_andn2_b32 vcc_lo, exec_lo, s54
	s_cbranch_vccnz .LBB5_5
; %bb.7:                                ;   in Loop: Header=BB5_6 Depth=2
	v_mad_u64_u32 v[21:22], null, s3, s14, v[4:5]
	s_mov_b32 s39, 0
	v_cmp_lt_i32_e64 s0, -1, v21
	v_cmp_gt_i32_e64 s1, s17, v21
	s_inst_prefetch 0x1
	s_branch .LBB5_9
	.p2align	6
.LBB5_8:                                ;   in Loop: Header=BB5_9 Depth=3
	v_add_co_u32 v8, vcc_lo, v8, s50
	v_add_co_ci_u32_e64 v9, null, s51, v9, vcc_lo
	s_add_i32 s39, s39, 1
	s_cmp_eq_u32 s39, s25
	s_cbranch_scc1 .LBB5_5
.LBB5_9:                                ;   Parent Loop BB5_3 Depth=1
                                        ;     Parent Loop BB5_6 Depth=2
                                        ; =>    This Loop Header: Depth=3
                                        ;         Child Loop BB5_12 Depth 4
	s_andn2_b32 vcc_lo, exec_lo, s55
	s_cbranch_vccnz .LBB5_8
; %bb.10:                               ;   in Loop: Header=BB5_9 Depth=3
	v_mad_u64_u32 v[22:23], null, s39, s15, v[5:6]
	v_mov_b32_e32 v21, v20
	s_mov_b32 s69, s26
	v_cmp_lt_i32_e64 s2, -1, v22
	v_cmp_gt_i32_e32 vcc_lo, s18, v22
	s_and_b32 s68, s0, s2
	s_branch .LBB5_12
	.p2align	6
.LBB5_11:                               ;   in Loop: Header=BB5_12 Depth=4
	s_or_b32 exec_lo, exec_lo, s2
	v_add_co_u32 v6, s2, v6, 4
	v_add_co_ci_u32_e64 v7, null, 0, v7, s2
	v_add_co_u32 v8, s2, v8, s48
	v_add_nc_u32_e32 v21, s38, v21
	v_add_co_ci_u32_e64 v9, null, s49, v9, s2
	s_add_i32 s69, s69, -1
	s_cmp_eq_u32 s69, 0
	s_cbranch_scc1 .LBB5_8
.LBB5_12:                               ;   Parent Loop BB5_3 Depth=1
                                        ;     Parent Loop BB5_6 Depth=2
                                        ;       Parent Loop BB5_9 Depth=3
                                        ; =>      This Inner Loop Header: Depth=4
	v_cmp_lt_i32_e64 s2, -1, v21
	s_and_b32 s70, s68, s2
	v_cmp_gt_i32_e64 s2, s19, v21
	s_and_b32 s70, s70, s1
	s_and_b32 s70, s70, vcc_lo
	s_and_b32 s70, s70, s2
	s_and_saveexec_b32 s2, s70
	s_cbranch_execz .LBB5_11
; %bb.13:                               ;   in Loop: Header=BB5_12 Depth=4
	global_load_dword v22, v[6:7], off
	global_load_dword v23, v[8:9], off
	s_waitcnt vmcnt(0)
	v_fmac_f32_e32 v19, v22, v23
	s_branch .LBB5_11
.LBB5_14:                               ;   in Loop: Header=BB5_3 Depth=1
	v_mov_b32_e32 v19, 0
.LBB5_15:                               ;   in Loop: Header=BB5_3 Depth=1
	s_and_b32 vcc_lo, exec_lo, s56
	s_cbranch_vccz .LBB5_2
; %bb.16:                               ;   in Loop: Header=BB5_3 Depth=1
	v_lshlrev_b64 v[3:4], 2, v[2:3]
	v_add_co_u32 v3, vcc_lo, s40, v3
	v_add_co_ci_u32_e64 v4, null, s41, v4, vcc_lo
	global_load_dword v3, v[3:4], off
	s_waitcnt vmcnt(0)
	v_add_f32_e32 v19, v19, v3
	s_branch .LBB5_2
.LBB5_17:
	s_endpgm
	.section	.rodata,"a",@progbits
	.p2align	6, 0x0
	.amdhsa_kernel _ZN2at6native12_GLOBAL__N_128conv_depthwise3d_cuda_kernelIffLin1ELin1ELin1ELin1ELin1ELin1EEEvN5torch10headeronly6detail27GenericPackedTensorAccessorINS5_14TensorAccessorIN3c108ArrayRefIlEEKT_Lm4ENS4_16DefaultPtrTraitsEiEENS_6detail16IndexBoundsCheckILm5EiEESC_Lm5ESD_iEENS6_INS7_ISA_SB_Lm4ESD_iEESH_SB_Lm5ESD_iEESI_PSC_iiiiiiiii
		.amdhsa_group_segment_fixed_size 0
		.amdhsa_private_segment_fixed_size 0
		.amdhsa_kernarg_size 448
		.amdhsa_user_sgpr_count 6
		.amdhsa_user_sgpr_private_segment_buffer 1
		.amdhsa_user_sgpr_dispatch_ptr 0
		.amdhsa_user_sgpr_queue_ptr 0
		.amdhsa_user_sgpr_kernarg_segment_ptr 1
		.amdhsa_user_sgpr_dispatch_id 0
		.amdhsa_user_sgpr_flat_scratch_init 0
		.amdhsa_user_sgpr_private_segment_size 0
		.amdhsa_wavefront_size32 1
		.amdhsa_uses_dynamic_stack 0
		.amdhsa_system_sgpr_private_segment_wavefront_offset 0
		.amdhsa_system_sgpr_workgroup_id_x 1
		.amdhsa_system_sgpr_workgroup_id_y 0
		.amdhsa_system_sgpr_workgroup_id_z 0
		.amdhsa_system_sgpr_workgroup_info 0
		.amdhsa_system_vgpr_workitem_id 0
		.amdhsa_next_free_vgpr 30
		.amdhsa_next_free_sgpr 71
		.amdhsa_reserve_vcc 1
		.amdhsa_reserve_flat_scratch 0
		.amdhsa_float_round_mode_32 0
		.amdhsa_float_round_mode_16_64 0
		.amdhsa_float_denorm_mode_32 3
		.amdhsa_float_denorm_mode_16_64 3
		.amdhsa_dx10_clamp 1
		.amdhsa_ieee_mode 1
		.amdhsa_fp16_overflow 0
		.amdhsa_workgroup_processor_mode 1
		.amdhsa_memory_ordered 1
		.amdhsa_forward_progress 1
		.amdhsa_shared_vgpr_count 0
		.amdhsa_exception_fp_ieee_invalid_op 0
		.amdhsa_exception_fp_denorm_src 0
		.amdhsa_exception_fp_ieee_div_zero 0
		.amdhsa_exception_fp_ieee_overflow 0
		.amdhsa_exception_fp_ieee_underflow 0
		.amdhsa_exception_fp_ieee_inexact 0
		.amdhsa_exception_int_div_zero 0
	.end_amdhsa_kernel
	.section	.text._ZN2at6native12_GLOBAL__N_128conv_depthwise3d_cuda_kernelIffLin1ELin1ELin1ELin1ELin1ELin1EEEvN5torch10headeronly6detail27GenericPackedTensorAccessorINS5_14TensorAccessorIN3c108ArrayRefIlEEKT_Lm4ENS4_16DefaultPtrTraitsEiEENS_6detail16IndexBoundsCheckILm5EiEESC_Lm5ESD_iEENS6_INS7_ISA_SB_Lm4ESD_iEESH_SB_Lm5ESD_iEESI_PSC_iiiiiiiii,"axG",@progbits,_ZN2at6native12_GLOBAL__N_128conv_depthwise3d_cuda_kernelIffLin1ELin1ELin1ELin1ELin1ELin1EEEvN5torch10headeronly6detail27GenericPackedTensorAccessorINS5_14TensorAccessorIN3c108ArrayRefIlEEKT_Lm4ENS4_16DefaultPtrTraitsEiEENS_6detail16IndexBoundsCheckILm5EiEESC_Lm5ESD_iEENS6_INS7_ISA_SB_Lm4ESD_iEESH_SB_Lm5ESD_iEESI_PSC_iiiiiiiii,comdat
.Lfunc_end5:
	.size	_ZN2at6native12_GLOBAL__N_128conv_depthwise3d_cuda_kernelIffLin1ELin1ELin1ELin1ELin1ELin1EEEvN5torch10headeronly6detail27GenericPackedTensorAccessorINS5_14TensorAccessorIN3c108ArrayRefIlEEKT_Lm4ENS4_16DefaultPtrTraitsEiEENS_6detail16IndexBoundsCheckILm5EiEESC_Lm5ESD_iEENS6_INS7_ISA_SB_Lm4ESD_iEESH_SB_Lm5ESD_iEESI_PSC_iiiiiiiii, .Lfunc_end5-_ZN2at6native12_GLOBAL__N_128conv_depthwise3d_cuda_kernelIffLin1ELin1ELin1ELin1ELin1ELin1EEEvN5torch10headeronly6detail27GenericPackedTensorAccessorINS5_14TensorAccessorIN3c108ArrayRefIlEEKT_Lm4ENS4_16DefaultPtrTraitsEiEENS_6detail16IndexBoundsCheckILm5EiEESC_Lm5ESD_iEENS6_INS7_ISA_SB_Lm4ESD_iEESH_SB_Lm5ESD_iEESI_PSC_iiiiiiiii
                                        ; -- End function
	.set _ZN2at6native12_GLOBAL__N_128conv_depthwise3d_cuda_kernelIffLin1ELin1ELin1ELin1ELin1ELin1EEEvN5torch10headeronly6detail27GenericPackedTensorAccessorINS5_14TensorAccessorIN3c108ArrayRefIlEEKT_Lm4ENS4_16DefaultPtrTraitsEiEENS_6detail16IndexBoundsCheckILm5EiEESC_Lm5ESD_iEENS6_INS7_ISA_SB_Lm4ESD_iEESH_SB_Lm5ESD_iEESI_PSC_iiiiiiiii.num_vgpr, 30
	.set _ZN2at6native12_GLOBAL__N_128conv_depthwise3d_cuda_kernelIffLin1ELin1ELin1ELin1ELin1ELin1EEEvN5torch10headeronly6detail27GenericPackedTensorAccessorINS5_14TensorAccessorIN3c108ArrayRefIlEEKT_Lm4ENS4_16DefaultPtrTraitsEiEENS_6detail16IndexBoundsCheckILm5EiEESC_Lm5ESD_iEENS6_INS7_ISA_SB_Lm4ESD_iEESH_SB_Lm5ESD_iEESI_PSC_iiiiiiiii.num_agpr, 0
	.set _ZN2at6native12_GLOBAL__N_128conv_depthwise3d_cuda_kernelIffLin1ELin1ELin1ELin1ELin1ELin1EEEvN5torch10headeronly6detail27GenericPackedTensorAccessorINS5_14TensorAccessorIN3c108ArrayRefIlEEKT_Lm4ENS4_16DefaultPtrTraitsEiEENS_6detail16IndexBoundsCheckILm5EiEESC_Lm5ESD_iEENS6_INS7_ISA_SB_Lm4ESD_iEESH_SB_Lm5ESD_iEESI_PSC_iiiiiiiii.numbered_sgpr, 71
	.set _ZN2at6native12_GLOBAL__N_128conv_depthwise3d_cuda_kernelIffLin1ELin1ELin1ELin1ELin1ELin1EEEvN5torch10headeronly6detail27GenericPackedTensorAccessorINS5_14TensorAccessorIN3c108ArrayRefIlEEKT_Lm4ENS4_16DefaultPtrTraitsEiEENS_6detail16IndexBoundsCheckILm5EiEESC_Lm5ESD_iEENS6_INS7_ISA_SB_Lm4ESD_iEESH_SB_Lm5ESD_iEESI_PSC_iiiiiiiii.num_named_barrier, 0
	.set _ZN2at6native12_GLOBAL__N_128conv_depthwise3d_cuda_kernelIffLin1ELin1ELin1ELin1ELin1ELin1EEEvN5torch10headeronly6detail27GenericPackedTensorAccessorINS5_14TensorAccessorIN3c108ArrayRefIlEEKT_Lm4ENS4_16DefaultPtrTraitsEiEENS_6detail16IndexBoundsCheckILm5EiEESC_Lm5ESD_iEENS6_INS7_ISA_SB_Lm4ESD_iEESH_SB_Lm5ESD_iEESI_PSC_iiiiiiiii.private_seg_size, 0
	.set _ZN2at6native12_GLOBAL__N_128conv_depthwise3d_cuda_kernelIffLin1ELin1ELin1ELin1ELin1ELin1EEEvN5torch10headeronly6detail27GenericPackedTensorAccessorINS5_14TensorAccessorIN3c108ArrayRefIlEEKT_Lm4ENS4_16DefaultPtrTraitsEiEENS_6detail16IndexBoundsCheckILm5EiEESC_Lm5ESD_iEENS6_INS7_ISA_SB_Lm4ESD_iEESH_SB_Lm5ESD_iEESI_PSC_iiiiiiiii.uses_vcc, 1
	.set _ZN2at6native12_GLOBAL__N_128conv_depthwise3d_cuda_kernelIffLin1ELin1ELin1ELin1ELin1ELin1EEEvN5torch10headeronly6detail27GenericPackedTensorAccessorINS5_14TensorAccessorIN3c108ArrayRefIlEEKT_Lm4ENS4_16DefaultPtrTraitsEiEENS_6detail16IndexBoundsCheckILm5EiEESC_Lm5ESD_iEENS6_INS7_ISA_SB_Lm4ESD_iEESH_SB_Lm5ESD_iEESI_PSC_iiiiiiiii.uses_flat_scratch, 0
	.set _ZN2at6native12_GLOBAL__N_128conv_depthwise3d_cuda_kernelIffLin1ELin1ELin1ELin1ELin1ELin1EEEvN5torch10headeronly6detail27GenericPackedTensorAccessorINS5_14TensorAccessorIN3c108ArrayRefIlEEKT_Lm4ENS4_16DefaultPtrTraitsEiEENS_6detail16IndexBoundsCheckILm5EiEESC_Lm5ESD_iEENS6_INS7_ISA_SB_Lm4ESD_iEESH_SB_Lm5ESD_iEESI_PSC_iiiiiiiii.has_dyn_sized_stack, 0
	.set _ZN2at6native12_GLOBAL__N_128conv_depthwise3d_cuda_kernelIffLin1ELin1ELin1ELin1ELin1ELin1EEEvN5torch10headeronly6detail27GenericPackedTensorAccessorINS5_14TensorAccessorIN3c108ArrayRefIlEEKT_Lm4ENS4_16DefaultPtrTraitsEiEENS_6detail16IndexBoundsCheckILm5EiEESC_Lm5ESD_iEENS6_INS7_ISA_SB_Lm4ESD_iEESH_SB_Lm5ESD_iEESI_PSC_iiiiiiiii.has_recursion, 0
	.set _ZN2at6native12_GLOBAL__N_128conv_depthwise3d_cuda_kernelIffLin1ELin1ELin1ELin1ELin1ELin1EEEvN5torch10headeronly6detail27GenericPackedTensorAccessorINS5_14TensorAccessorIN3c108ArrayRefIlEEKT_Lm4ENS4_16DefaultPtrTraitsEiEENS_6detail16IndexBoundsCheckILm5EiEESC_Lm5ESD_iEENS6_INS7_ISA_SB_Lm4ESD_iEESH_SB_Lm5ESD_iEESI_PSC_iiiiiiiii.has_indirect_call, 0
	.section	.AMDGPU.csdata,"",@progbits
; Kernel info:
; codeLenInByte = 2036
; TotalNumSgprs: 73
; NumVgprs: 30
; ScratchSize: 0
; MemoryBound: 0
; FloatMode: 240
; IeeeMode: 1
; LDSByteSize: 0 bytes/workgroup (compile time only)
; SGPRBlocks: 0
; VGPRBlocks: 3
; NumSGPRsForWavesPerEU: 73
; NumVGPRsForWavesPerEU: 30
; Occupancy: 16
; WaveLimiterHint : 0
; COMPUTE_PGM_RSRC2:SCRATCH_EN: 0
; COMPUTE_PGM_RSRC2:USER_SGPR: 6
; COMPUTE_PGM_RSRC2:TRAP_HANDLER: 0
; COMPUTE_PGM_RSRC2:TGID_X_EN: 1
; COMPUTE_PGM_RSRC2:TGID_Y_EN: 0
; COMPUTE_PGM_RSRC2:TGID_Z_EN: 0
; COMPUTE_PGM_RSRC2:TIDIG_COMP_CNT: 0
	.section	.text._ZN2at6native12_GLOBAL__N_128conv_depthwise3d_cuda_kernelIN3c104HalfEfLi3ELi3ELi3ELi1ELi1ELi1EEEvN5torch10headeronly6detail27GenericPackedTensorAccessorINS7_14TensorAccessorINS3_8ArrayRefIlEEKT_Lm4ENS6_16DefaultPtrTraitsEiEENS_6detail16IndexBoundsCheckILm5EiEESD_Lm5ESE_iEENS8_INS9_ISB_SC_Lm4ESE_iEESI_SC_Lm5ESE_iEESJ_PSD_iiiiiiiii,"axG",@progbits,_ZN2at6native12_GLOBAL__N_128conv_depthwise3d_cuda_kernelIN3c104HalfEfLi3ELi3ELi3ELi1ELi1ELi1EEEvN5torch10headeronly6detail27GenericPackedTensorAccessorINS7_14TensorAccessorINS3_8ArrayRefIlEEKT_Lm4ENS6_16DefaultPtrTraitsEiEENS_6detail16IndexBoundsCheckILm5EiEESD_Lm5ESE_iEENS8_INS9_ISB_SC_Lm4ESE_iEESI_SC_Lm5ESE_iEESJ_PSD_iiiiiiiii,comdat
	.globl	_ZN2at6native12_GLOBAL__N_128conv_depthwise3d_cuda_kernelIN3c104HalfEfLi3ELi3ELi3ELi1ELi1ELi1EEEvN5torch10headeronly6detail27GenericPackedTensorAccessorINS7_14TensorAccessorINS3_8ArrayRefIlEEKT_Lm4ENS6_16DefaultPtrTraitsEiEENS_6detail16IndexBoundsCheckILm5EiEESD_Lm5ESE_iEENS8_INS9_ISB_SC_Lm4ESE_iEESI_SC_Lm5ESE_iEESJ_PSD_iiiiiiiii ; -- Begin function _ZN2at6native12_GLOBAL__N_128conv_depthwise3d_cuda_kernelIN3c104HalfEfLi3ELi3ELi3ELi1ELi1ELi1EEEvN5torch10headeronly6detail27GenericPackedTensorAccessorINS7_14TensorAccessorINS3_8ArrayRefIlEEKT_Lm4ENS6_16DefaultPtrTraitsEiEENS_6detail16IndexBoundsCheckILm5EiEESD_Lm5ESE_iEENS8_INS9_ISB_SC_Lm4ESE_iEESI_SC_Lm5ESE_iEESJ_PSD_iiiiiiiii
	.p2align	8
	.type	_ZN2at6native12_GLOBAL__N_128conv_depthwise3d_cuda_kernelIN3c104HalfEfLi3ELi3ELi3ELi1ELi1ELi1EEEvN5torch10headeronly6detail27GenericPackedTensorAccessorINS7_14TensorAccessorINS3_8ArrayRefIlEEKT_Lm4ENS6_16DefaultPtrTraitsEiEENS_6detail16IndexBoundsCheckILm5EiEESD_Lm5ESE_iEENS8_INS9_ISB_SC_Lm4ESE_iEESI_SC_Lm5ESE_iEESJ_PSD_iiiiiiiii,@function
_ZN2at6native12_GLOBAL__N_128conv_depthwise3d_cuda_kernelIN3c104HalfEfLi3ELi3ELi3ELi1ELi1ELi1EEEvN5torch10headeronly6detail27GenericPackedTensorAccessorINS7_14TensorAccessorINS3_8ArrayRefIlEEKT_Lm4ENS6_16DefaultPtrTraitsEiEENS_6detail16IndexBoundsCheckILm5EiEESD_Lm5ESE_iEENS8_INS9_ISB_SC_Lm4ESE_iEESI_SC_Lm5ESE_iEESJ_PSD_iiiiiiiii: ; @_ZN2at6native12_GLOBAL__N_128conv_depthwise3d_cuda_kernelIN3c104HalfEfLi3ELi3ELi3ELi1ELi1ELi1EEEvN5torch10headeronly6detail27GenericPackedTensorAccessorINS7_14TensorAccessorINS3_8ArrayRefIlEEKT_Lm4ENS6_16DefaultPtrTraitsEiEENS_6detail16IndexBoundsCheckILm5EiEESD_Lm5ESE_iEENS8_INS9_ISB_SC_Lm4ESE_iEESI_SC_Lm5ESE_iEESJ_PSD_iiiiiiiii
; %bb.0:
	s_clause 0x3
	s_load_dwordx4 s[16:19], s[4:5], 0xc
	s_load_dwordx2 s[14:15], s[4:5], 0x48
	s_load_dword s3, s[4:5], 0xcc
	s_load_dwordx4 s[20:23], s[4:5], 0x38
	v_mov_b32_e32 v7, 0
	s_waitcnt lgkmcnt(0)
	s_abs_i32 s2, s16
	s_add_u32 s0, s4, 0xc0
	v_cvt_f32_u32_e32 v1, s2
	s_addc_u32 s1, s5, 0
	s_and_b32 s8, s3, 0xffff
	s_mul_i32 s34, s15, s20
	s_mul_i32 s33, s8, s6
	v_rcp_iflag_f32_e32 v1, v1
	s_mul_hi_u32 s20, s8, s6
	s_ashr_i32 s35, s34, 31
	s_mov_b32 s6, exec_lo
	v_mul_f32_e32 v3, 0x4f7ffffe, v1
	v_add_co_u32 v1, s3, s33, v0
	v_add_co_ci_u32_e64 v2, null, s20, 0, s3
	v_cvt_u32_f32_e32 v3, v3
	v_readfirstlane_b32 s3, v3
	v_cmpx_gt_i64_e64 s[34:35], v[1:2]
	s_cbranch_execz .LBB6_59
; %bb.1:
	s_sub_i32 s6, 0, s2
	s_abs_i32 s55, s21
	s_mul_i32 s6, s6, s3
	s_load_dwordx2 s[40:41], s[4:5], 0x90
	s_mul_hi_u32 s6, s3, s6
	s_ashr_i32 s54, s21, 31
	s_add_i32 s3, s3, s6
	s_ashr_i32 s6, s16, 31
	s_mul_hi_u32 s3, s55, s3
	s_xor_b32 s9, s54, s6
	s_mul_i32 s7, s3, s2
	s_load_dword s16, s[4:5], 0x7c
	s_sub_i32 s6, s55, s7
	s_add_i32 s7, s3, 1
	s_sub_i32 s10, s6, s2
	s_cmp_ge_u32 s6, s2
	v_cvt_f32_u32_e32 v4, s55
	s_cselect_b32 s3, s7, s3
	s_cselect_b32 s6, s10, s6
	s_add_i32 s7, s3, 1
	s_cmp_ge_u32 s6, s2
	v_rcp_iflag_f32_e32 v4, v4
	s_cselect_b32 s2, s7, s3
	s_add_i32 s6, s18, -3
	s_xor_b32 s2, s2, s9
	s_mul_i32 s6, s19, s6
	s_ashr_i32 s3, s19, 31
	s_sub_i32 s9, s2, s9
	s_ashr_i32 s7, s6, 31
	s_waitcnt lgkmcnt(0)
	s_cmp_lg_u64 s[40:41], 0
	s_clause 0x1
	s_load_dwordx4 s[24:27], s[4:5], 0x98
	s_load_dwordx2 s[42:43], s[4:5], 0xa8
	s_cselect_b32 s56, -1, 0
	s_abs_i32 s57, s14
	s_abs_i32 s58, s23
	v_cvt_f32_u32_e32 v1, s57
	v_cvt_f32_u32_e32 v2, s58
	s_abs_i32 s60, s22
	s_abs_i32 s61, s9
	v_cvt_f32_u32_e32 v3, s60
	v_rcp_iflag_f32_e32 v1, v1
	v_cvt_f32_u32_e32 v5, s61
	v_rcp_iflag_f32_e32 v2, v2
	v_mul_f32_e32 v4, 0x4f7ffffe, v4
	v_rcp_iflag_f32_e32 v3, v3
	s_load_dword s0, s[0:1], 0x0
	v_rcp_iflag_f32_e32 v5, v5
	s_sub_i32 s1, 0, s57
	v_cvt_u32_f32_e32 v4, v4
	s_sub_i32 s2, 0, s61
	v_mul_f32_e32 v1, 0x4f7ffffe, v1
	s_clause 0x1
	s_load_dwordx2 s[44:45], s[4:5], 0x0
	s_load_dwordx4 s[28:31], s[4:5], 0x1c
	v_mul_f32_e32 v2, 0x4f7ffffe, v2
	s_clause 0x1
	s_load_dword s62, s[4:5], 0x2c
	s_load_dwordx2 s[46:47], s[4:5], 0x30
	v_mul_f32_e32 v3, 0x4f7ffffe, v3
	v_cvt_u32_f32_e32 v1, v1
	v_mul_f32_e32 v5, 0x4f7ffffe, v5
	v_cvt_u32_f32_e32 v2, v2
	s_clause 0x1
	s_load_dwordx2 s[48:49], s[4:5], 0x60
	s_load_dwordx4 s[36:39], s[4:5], 0x50
	v_cvt_u32_f32_e32 v3, v3
	v_mul_lo_u32 v6, s1, v1
	s_sub_i32 s1, 0, s58
	v_cvt_u32_f32_e32 v5, v5
	v_mul_lo_u32 v8, s1, v2
	s_sub_i32 s1, 0, s60
	s_mov_b32 s59, 0
	v_mul_lo_u32 v9, s1, v3
	s_sub_i32 s1, 0, s55
	v_mul_lo_u32 v11, s2, v5
	v_mul_lo_u32 v10, s1, v4
	v_mul_hi_u32 v6, v1, v6
	v_mul_hi_u32 v12, v2, v8
	s_mov_b32 s2, s19
	s_waitcnt lgkmcnt(0)
	s_mul_i32 s63, s0, s8
	v_mul_hi_u32 v13, v3, v9
	s_ashr_i32 s64, s14, 31
	v_mul_hi_u32 v15, v5, v11
	v_mul_hi_u32 v14, v4, v10
	v_add_nc_u32_e32 v8, v1, v6
	v_add_nc_u32_e32 v9, v2, v12
	s_ashr_i32 s65, s23, 31
	s_ashr_i32 s66, s22, 31
	v_add_nc_u32_e32 v10, v3, v13
	s_ashr_i32 s67, s9, 31
	v_add_nc_u32_e32 v12, v5, v15
	v_add_nc_u32_e32 v11, v4, v14
	s_lshl_b64 s[50:51], s[2:3], 1
	s_lshl_b64 s[52:53], s[6:7], 1
	s_branch .LBB6_3
.LBB6_2:                                ;   in Loop: Header=BB6_3 Depth=1
	v_mul_lo_u32 v2, v14, s15
	v_mul_lo_u32 v4, s36, v1
	;; [unrolled: 1-line block ×5, first 2 shown]
	v_cvt_f16_f32_e32 v13, v17
	v_ashrrev_i32_e32 v3, 31, v2
	v_ashrrev_i32_e32 v5, 31, v4
	v_ashrrev_i32_e32 v15, 31, v14
	v_ashrrev_i32_e32 v17, 31, v16
	v_lshlrev_b64 v[18:19], 1, v[2:3]
	v_ashrrev_i32_e32 v2, 31, v1
	v_lshlrev_b64 v[3:4], 1, v[4:5]
	v_lshlrev_b64 v[1:2], 1, v[1:2]
	v_add_co_u32 v5, vcc_lo, s46, v18
	v_add_co_ci_u32_e64 v6, null, s47, v19, vcc_lo
	v_add_co_u32 v5, vcc_lo, v5, v3
	v_add_co_ci_u32_e64 v6, null, v6, v4, vcc_lo
	v_lshlrev_b64 v[3:4], 1, v[14:15]
	v_add_co_u32 v14, vcc_lo, v5, v1
	v_add_co_ci_u32_e64 v15, null, v6, v2, vcc_lo
	v_add_co_u32 v0, vcc_lo, v0, s63
	v_add_co_ci_u32_e64 v7, null, 0, v7, vcc_lo
	;; [unrolled: 5-line block ×3, first 2 shown]
	v_cmp_le_i64_e32 vcc_lo, s[34:35], v[5:6]
	v_add_co_u32 v1, s0, v3, v1
	v_add_co_ci_u32_e64 v2, null, v4, v2, s0
	s_or_b32 s59, vcc_lo, s59
	global_store_short v[1:2], v13, off
	s_andn2_b32 exec_lo, exec_lo, s59
	s_cbranch_execz .LBB6_59
.LBB6_3:                                ; =>This Inner Loop Header: Depth=1
	v_add_nc_u32_e32 v2, s33, v0
	v_sub_nc_u32_e32 v1, 0, v2
	v_max_i32_e32 v1, v2, v1
	v_mul_hi_u32 v3, v1, v8
	v_mul_lo_u32 v4, v3, s57
	v_sub_nc_u32_e32 v1, v1, v4
	v_add_nc_u32_e32 v4, 1, v3
	v_subrev_nc_u32_e32 v5, s57, v1
	v_cmp_le_u32_e32 vcc_lo, s57, v1
	v_cndmask_b32_e32 v3, v3, v4, vcc_lo
	v_cndmask_b32_e32 v1, v1, v5, vcc_lo
	v_ashrrev_i32_e32 v4, 31, v2
	v_add_nc_u32_e32 v5, 1, v3
	v_cmp_le_u32_e32 vcc_lo, s57, v1
	v_xor_b32_e32 v4, s64, v4
	v_cndmask_b32_e32 v1, v3, v5, vcc_lo
	v_xor_b32_e32 v1, v1, v4
	v_sub_nc_u32_e32 v4, v1, v4
	v_sub_nc_u32_e32 v1, 0, v4
	v_max_i32_e32 v1, v4, v1
	v_mul_hi_u32 v3, v1, v9
	v_mul_lo_u32 v5, v3, s58
	v_sub_nc_u32_e32 v1, v1, v5
	v_add_nc_u32_e32 v5, 1, v3
	v_subrev_nc_u32_e32 v6, s58, v1
	v_cmp_le_u32_e32 vcc_lo, s58, v1
	v_cndmask_b32_e32 v3, v3, v5, vcc_lo
	v_cndmask_b32_e32 v1, v1, v6, vcc_lo
	v_ashrrev_i32_e32 v5, 31, v4
	v_add_nc_u32_e32 v6, 1, v3
	v_cmp_le_u32_e32 vcc_lo, s58, v1
	v_xor_b32_e32 v5, s65, v5
	v_cndmask_b32_e32 v1, v3, v6, vcc_lo
	v_xor_b32_e32 v1, v1, v5
	v_sub_nc_u32_e32 v5, v1, v5
	v_sub_nc_u32_e32 v1, 0, v5
	v_mul_lo_u32 v15, v5, s23
	v_max_i32_e32 v1, v5, v1
	v_sub_nc_u32_e32 v15, v4, v15
	v_mul_hi_u32 v3, v1, v10
	v_mul_lo_u32 v18, v15, s25
	v_mul_lo_u32 v6, v3, s60
	v_sub_nc_u32_e32 v1, v1, v6
	v_add_nc_u32_e32 v6, 1, v3
	v_subrev_nc_u32_e32 v13, s60, v1
	v_cmp_le_u32_e32 vcc_lo, s60, v1
	v_cndmask_b32_e32 v3, v3, v6, vcc_lo
	v_cndmask_b32_e32 v1, v1, v13, vcc_lo
	v_ashrrev_i32_e32 v6, 31, v5
	v_add_nc_u32_e32 v13, 1, v3
	v_cmp_le_u32_e32 vcc_lo, s60, v1
	v_xor_b32_e32 v6, s66, v6
	v_cndmask_b32_e32 v1, v3, v13, vcc_lo
	v_xor_b32_e32 v1, v1, v6
	v_sub_nc_u32_e32 v6, v1, v6
	v_sub_nc_u32_e32 v1, 0, v6
	v_max_i32_e32 v1, v6, v1
	v_mul_hi_u32 v3, v1, v11
	v_mul_lo_u32 v13, v3, s55
	v_sub_nc_u32_e32 v1, v1, v13
	v_add_nc_u32_e32 v13, 1, v3
	v_subrev_nc_u32_e32 v14, s55, v1
	v_cmp_le_u32_e32 vcc_lo, s55, v1
	v_cndmask_b32_e32 v3, v3, v13, vcc_lo
	v_cndmask_b32_e32 v1, v1, v14, vcc_lo
	v_ashrrev_i32_e32 v13, 31, v6
	v_add_nc_u32_e32 v14, 1, v3
	v_cmp_le_u32_e32 vcc_lo, s55, v1
	v_xor_b32_e32 v13, s54, v13
	v_cndmask_b32_e32 v1, v3, v14, vcc_lo
	v_mul_lo_u32 v3, v4, s14
	v_xor_b32_e32 v1, v1, v13
	v_sub_nc_u32_e32 v14, v1, v13
	v_mul_lo_u32 v1, v14, s21
	v_sub_nc_u32_e32 v1, v6, v1
	v_mul_lo_u32 v6, v6, s22
	v_sub_nc_u32_e32 v13, 0, v1
	v_max_i32_e32 v16, v1, v13
	v_sub_nc_u32_e32 v13, v2, v3
	v_mul_hi_u32 v2, v16, v12
	v_mul_lo_u32 v3, v13, s26
	v_mul_lo_u32 v17, v2, s61
	v_add_nc_u32_e32 v4, 1, v2
	v_subrev_nc_u32_e32 v20, s43, v3
	v_mul_lo_u32 v3, s62, v20
	v_sub_nc_u32_e32 v17, v16, v17
	v_sub_nc_u32_e32 v16, v5, v6
	v_cmp_lt_i32_e64 s0, -1, v20
	v_subrev_nc_u32_e32 v19, s61, v17
	v_cmp_le_u32_e32 vcc_lo, s61, v17
	v_cndmask_b32_e32 v21, v2, v4, vcc_lo
	v_cndmask_b32_e32 v5, v17, v19, vcc_lo
	v_ashrrev_i32_e32 v2, 31, v1
	v_ashrrev_i32_e32 v4, 31, v3
	v_mul_lo_u32 v17, v16, s24
	v_add_nc_u32_e32 v6, 1, v21
	v_cmp_le_u32_e32 vcc_lo, s61, v5
	v_xor_b32_e32 v23, s67, v2
	v_subrev_nc_u32_e32 v19, s42, v18
	v_cndmask_b32_e32 v6, v21, v6, vcc_lo
	v_lshlrev_b64 v[21:22], 1, v[3:4]
	v_mul_lo_u32 v3, s28, v14
	v_subrev_nc_u32_e32 v18, s27, v17
	v_mul_lo_u32 v5, s31, v19
	v_xor_b32_e32 v24, v6, v23
	v_cmp_gt_i32_e64 s5, s18, v19
	v_cmp_gt_i32_e32 vcc_lo, s19, v20
	v_or_b32_e32 v17, v18, v19
	v_cmp_gt_i32_e64 s11, s17, v18
	v_sub_nc_u32_e32 v4, v24, v23
	v_mul_lo_u32 v23, s30, v18
	v_ashrrev_i32_e32 v6, 31, v5
	v_or_b32_e32 v27, v17, v20
	v_cmp_lt_i32_e64 s4, -1, v17
	v_mul_lo_u32 v25, s29, v4
	v_ashrrev_i32_e32 v4, 31, v3
	v_lshlrev_b64 v[5:6], 1, v[5:6]
	v_cmp_lt_i32_e64 s1, -1, v27
	v_ashrrev_i32_e32 v24, 31, v23
	v_mul_lo_u32 v27, s16, v1
	v_lshlrev_b64 v[3:4], 1, v[3:4]
	v_cmp_lt_i32_e64 s6, -1, v19
	v_ashrrev_i32_e32 v26, 31, v25
	v_lshlrev_b64 v[23:24], 1, v[23:24]
	v_cmp_lt_i32_e64 s8, -1, v18
	v_add_co_u32 v3, s2, s44, v3
	v_lshlrev_b64 v[25:26], 1, v[25:26]
	v_add_co_ci_u32_e64 v4, null, s45, v4, s2
	s_and_b32 s2, s1, s11
	v_ashrrev_i32_e32 v28, 31, v27
	v_add_co_u32 v3, s1, v3, v25
	v_add_co_ci_u32_e64 v4, null, v4, v26, s1
	v_add_co_u32 v17, s1, v3, v23
	v_add_co_ci_u32_e64 v23, null, v4, v24, s1
	v_lshlrev_b64 v[3:4], 1, v[27:28]
	v_add_co_u32 v5, s1, v17, v5
	v_add_co_ci_u32_e64 v6, null, v23, v6, s1
	v_mov_b32_e32 v17, 0
	v_add_co_u32 v3, s1, s48, v3
	v_add_co_ci_u32_e64 v4, null, s49, v4, s1
	v_add_co_u32 v5, s1, v5, v21
	v_add_co_ci_u32_e64 v6, null, v6, v22, s1
	s_and_b32 s1, s2, s5
	s_and_b32 s2, s1, vcc_lo
	s_and_saveexec_b32 s1, s2
	s_cbranch_execz .LBB6_5
; %bb.4:                                ;   in Loop: Header=BB6_3 Depth=1
	global_load_ushort v17, v[3:4], off
	global_load_ushort v21, v[5:6], off
	s_waitcnt vmcnt(0)
	v_fma_mix_f32 v17, v17, v21, 0 op_sel_hi:[1,1,0]
.LBB6_5:                                ;   in Loop: Header=BB6_3 Depth=1
	s_or_b32 exec_lo, exec_lo, s1
	v_cmp_lt_i32_e64 s1, -2, v20
	v_add_nc_u32_e32 v21, 1, v20
	s_and_b32 s3, s4, s1
	v_cmp_gt_i32_e64 s2, s19, v21
	s_and_b32 s3, s3, s11
	s_and_b32 s3, s3, s5
	s_and_b32 s7, s3, s2
	s_and_saveexec_b32 s3, s7
	s_cbranch_execz .LBB6_7
; %bb.6:                                ;   in Loop: Header=BB6_3 Depth=1
	global_load_ushort v21, v[3:4], off offset:2
	global_load_ushort v22, v[5:6], off offset:2
	s_waitcnt vmcnt(0)
	v_fma_mix_f32 v17, v21, v22, v17 op_sel_hi:[1,1,0]
.LBB6_7:                                ;   in Loop: Header=BB6_3 Depth=1
	s_or_b32 exec_lo, exec_lo, s3
	v_cmp_lt_i32_e64 s3, -3, v20
	v_add_nc_u32_e32 v20, 2, v20
	s_and_b32 s7, s4, s3
	v_cmp_gt_i32_e64 s4, s19, v20
	s_and_b32 s7, s7, s11
	s_and_b32 s7, s7, s5
	;; [unrolled: 1-line block ×3, first 2 shown]
	s_and_saveexec_b32 s7, s9
	s_cbranch_execz .LBB6_9
; %bb.8:                                ;   in Loop: Header=BB6_3 Depth=1
	global_load_ushort v20, v[3:4], off offset:4
	global_load_ushort v21, v[5:6], off offset:4
	s_waitcnt vmcnt(0)
	v_fma_mix_f32 v17, v20, v21, v17 op_sel_hi:[1,1,0]
.LBB6_9:                                ;   in Loop: Header=BB6_3 Depth=1
	s_or_b32 exec_lo, exec_lo, s7
	v_cmp_lt_i32_e64 s9, -2, v19
	v_add_nc_u32_e32 v20, 1, v19
	s_and_b32 s12, s8, s9
	v_cmp_gt_i32_e64 s7, s18, v20
	s_and_b32 s10, s12, s0
	s_and_b32 s13, s10, s11
	v_add_co_u32 v5, s10, v5, s50
	v_add_co_ci_u32_e64 v6, null, s51, v6, s10
	s_and_b32 s10, s13, s7
	s_and_b32 s13, s10, vcc_lo
	s_and_saveexec_b32 s10, s13
	s_cbranch_execz .LBB6_11
; %bb.10:                               ;   in Loop: Header=BB6_3 Depth=1
	global_load_ushort v20, v[3:4], off offset:6
	global_load_ushort v21, v[5:6], off
	s_waitcnt vmcnt(0)
	v_fma_mix_f32 v17, v20, v21, v17 op_sel_hi:[1,1,0]
.LBB6_11:                               ;   in Loop: Header=BB6_3 Depth=1
	s_or_b32 exec_lo, exec_lo, s10
	s_and_b32 s10, s12, s1
	s_and_b32 s10, s10, s11
	;; [unrolled: 1-line block ×4, first 2 shown]
	s_and_saveexec_b32 s10, s13
	s_cbranch_execz .LBB6_13
; %bb.12:                               ;   in Loop: Header=BB6_3 Depth=1
	global_load_ushort v20, v[3:4], off offset:8
	global_load_ushort v21, v[5:6], off offset:2
	s_waitcnt vmcnt(0)
	v_fma_mix_f32 v17, v20, v21, v17 op_sel_hi:[1,1,0]
.LBB6_13:                               ;   in Loop: Header=BB6_3 Depth=1
	s_or_b32 exec_lo, exec_lo, s10
	s_and_b32 s10, s12, s3
	s_and_b32 s10, s10, s11
	;; [unrolled: 1-line block ×4, first 2 shown]
	s_and_saveexec_b32 s10, s12
	s_cbranch_execz .LBB6_15
; %bb.14:                               ;   in Loop: Header=BB6_3 Depth=1
	global_load_ushort v20, v[3:4], off offset:10
	global_load_ushort v21, v[5:6], off offset:4
	s_waitcnt vmcnt(0)
	v_fma_mix_f32 v17, v20, v21, v17 op_sel_hi:[1,1,0]
.LBB6_15:                               ;   in Loop: Header=BB6_3 Depth=1
	s_or_b32 exec_lo, exec_lo, s10
	v_cmp_lt_i32_e64 s10, -3, v19
	v_add_nc_u32_e32 v19, 2, v19
	s_and_b32 s13, s8, s10
	v_cmp_gt_i32_e64 s8, s18, v19
	s_and_b32 s12, s13, s0
	s_and_b32 s68, s12, s11
	v_add_co_u32 v5, s12, v5, s50
	v_add_co_ci_u32_e64 v6, null, s51, v6, s12
	s_and_b32 s12, s68, s8
	s_and_b32 s68, s12, vcc_lo
	s_and_saveexec_b32 s12, s68
	s_cbranch_execz .LBB6_17
; %bb.16:                               ;   in Loop: Header=BB6_3 Depth=1
	global_load_ushort v19, v[3:4], off offset:12
	global_load_ushort v20, v[5:6], off
	s_waitcnt vmcnt(0)
	v_fma_mix_f32 v17, v19, v20, v17 op_sel_hi:[1,1,0]
.LBB6_17:                               ;   in Loop: Header=BB6_3 Depth=1
	s_or_b32 exec_lo, exec_lo, s12
	s_and_b32 s12, s13, s1
	s_and_b32 s12, s12, s11
	;; [unrolled: 1-line block ×4, first 2 shown]
	s_and_saveexec_b32 s12, s68
	s_cbranch_execz .LBB6_19
; %bb.18:                               ;   in Loop: Header=BB6_3 Depth=1
	global_load_ushort v19, v[3:4], off offset:14
	global_load_ushort v20, v[5:6], off offset:2
	s_waitcnt vmcnt(0)
	v_fma_mix_f32 v17, v19, v20, v17 op_sel_hi:[1,1,0]
.LBB6_19:                               ;   in Loop: Header=BB6_3 Depth=1
	s_or_b32 exec_lo, exec_lo, s12
	s_and_b32 s12, s13, s3
	s_and_b32 s11, s12, s11
	;; [unrolled: 1-line block ×4, first 2 shown]
	s_and_saveexec_b32 s11, s12
	s_cbranch_execz .LBB6_21
; %bb.20:                               ;   in Loop: Header=BB6_3 Depth=1
	global_load_ushort v19, v[3:4], off offset:16
	global_load_ushort v20, v[5:6], off offset:4
	s_waitcnt vmcnt(0)
	v_fma_mix_f32 v17, v19, v20, v17 op_sel_hi:[1,1,0]
.LBB6_21:                               ;   in Loop: Header=BB6_3 Depth=1
	s_or_b32 exec_lo, exec_lo, s11
	v_add_nc_u32_e32 v19, 1, v18
	v_cmp_lt_i32_e64 s12, -2, v18
	v_add_co_u32 v5, s13, v5, s50
	v_add_co_ci_u32_e64 v6, null, s51, v6, s13
	v_cmp_gt_i32_e64 s11, s17, v19
	s_and_b32 s68, s12, s6
	v_add_co_u32 v5, s13, v5, s52
	s_and_b32 s69, s68, s0
	v_add_co_ci_u32_e64 v6, null, s53, v6, s13
	s_and_b32 s69, s69, s11
	s_and_b32 s13, s69, s5
	s_and_b32 s69, s13, vcc_lo
	s_and_saveexec_b32 s13, s69
	s_cbranch_execz .LBB6_23
; %bb.22:                               ;   in Loop: Header=BB6_3 Depth=1
	global_load_ushort v19, v[3:4], off offset:18
	global_load_ushort v20, v[5:6], off
	s_waitcnt vmcnt(0)
	v_fma_mix_f32 v17, v19, v20, v17 op_sel_hi:[1,1,0]
.LBB6_23:                               ;   in Loop: Header=BB6_3 Depth=1
	s_or_b32 exec_lo, exec_lo, s13
	s_and_b32 s13, s68, s1
	s_and_b32 s13, s13, s11
	;; [unrolled: 1-line block ×4, first 2 shown]
	s_and_saveexec_b32 s13, s69
	s_cbranch_execz .LBB6_25
; %bb.24:                               ;   in Loop: Header=BB6_3 Depth=1
	global_load_ushort v19, v[3:4], off offset:20
	global_load_ushort v20, v[5:6], off offset:2
	s_waitcnt vmcnt(0)
	v_fma_mix_f32 v17, v19, v20, v17 op_sel_hi:[1,1,0]
.LBB6_25:                               ;   in Loop: Header=BB6_3 Depth=1
	s_or_b32 exec_lo, exec_lo, s13
	s_and_b32 s13, s68, s3
	s_and_b32 s13, s13, s11
	;; [unrolled: 1-line block ×4, first 2 shown]
	s_and_saveexec_b32 s13, s68
	s_cbranch_execz .LBB6_27
; %bb.26:                               ;   in Loop: Header=BB6_3 Depth=1
	global_load_ushort v19, v[3:4], off offset:22
	global_load_ushort v20, v[5:6], off offset:4
	s_waitcnt vmcnt(0)
	v_fma_mix_f32 v17, v19, v20, v17 op_sel_hi:[1,1,0]
.LBB6_27:                               ;   in Loop: Header=BB6_3 Depth=1
	s_or_b32 exec_lo, exec_lo, s13
	s_and_b32 s68, s12, s9
	s_and_b32 s13, s68, s0
	;; [unrolled: 1-line block ×3, first 2 shown]
	v_add_co_u32 v5, s13, v5, s50
	v_add_co_ci_u32_e64 v6, null, s51, v6, s13
	s_and_b32 s13, s69, s7
	s_and_b32 s69, s13, vcc_lo
	s_and_saveexec_b32 s13, s69
	s_cbranch_execz .LBB6_29
; %bb.28:                               ;   in Loop: Header=BB6_3 Depth=1
	global_load_ushort v19, v[3:4], off offset:24
	global_load_ushort v20, v[5:6], off
	s_waitcnt vmcnt(0)
	v_fma_mix_f32 v17, v19, v20, v17 op_sel_hi:[1,1,0]
.LBB6_29:                               ;   in Loop: Header=BB6_3 Depth=1
	s_or_b32 exec_lo, exec_lo, s13
	s_and_b32 s13, s68, s1
	s_and_b32 s13, s13, s11
	s_and_b32 s13, s13, s7
	s_and_b32 s69, s13, s2
	s_and_saveexec_b32 s13, s69
	s_cbranch_execz .LBB6_31
; %bb.30:                               ;   in Loop: Header=BB6_3 Depth=1
	global_load_ushort v19, v[3:4], off offset:26
	global_load_ushort v20, v[5:6], off offset:2
	s_waitcnt vmcnt(0)
	v_fma_mix_f32 v17, v19, v20, v17 op_sel_hi:[1,1,0]
.LBB6_31:                               ;   in Loop: Header=BB6_3 Depth=1
	s_or_b32 exec_lo, exec_lo, s13
	s_and_b32 s13, s68, s3
	s_and_b32 s13, s13, s11
	;; [unrolled: 1-line block ×4, first 2 shown]
	s_and_saveexec_b32 s13, s68
	s_cbranch_execz .LBB6_33
; %bb.32:                               ;   in Loop: Header=BB6_3 Depth=1
	global_load_ushort v19, v[3:4], off offset:28
	global_load_ushort v20, v[5:6], off offset:4
	s_waitcnt vmcnt(0)
	v_fma_mix_f32 v17, v19, v20, v17 op_sel_hi:[1,1,0]
.LBB6_33:                               ;   in Loop: Header=BB6_3 Depth=1
	s_or_b32 exec_lo, exec_lo, s13
	s_and_b32 s13, s12, s10
	s_and_b32 s12, s13, s0
	;; [unrolled: 1-line block ×3, first 2 shown]
	v_add_co_u32 v5, s12, v5, s50
	v_add_co_ci_u32_e64 v6, null, s51, v6, s12
	s_and_b32 s12, s68, s8
	s_and_b32 s68, s12, vcc_lo
	s_and_saveexec_b32 s12, s68
	s_cbranch_execz .LBB6_35
; %bb.34:                               ;   in Loop: Header=BB6_3 Depth=1
	global_load_ushort v19, v[3:4], off offset:30
	global_load_ushort v20, v[5:6], off
	s_waitcnt vmcnt(0)
	v_fma_mix_f32 v17, v19, v20, v17 op_sel_hi:[1,1,0]
.LBB6_35:                               ;   in Loop: Header=BB6_3 Depth=1
	s_or_b32 exec_lo, exec_lo, s12
	s_and_b32 s12, s13, s1
	s_and_b32 s12, s12, s11
	;; [unrolled: 1-line block ×4, first 2 shown]
	s_and_saveexec_b32 s12, s68
	s_cbranch_execz .LBB6_37
; %bb.36:                               ;   in Loop: Header=BB6_3 Depth=1
	global_load_ushort v19, v[3:4], off offset:32
	global_load_ushort v20, v[5:6], off offset:2
	s_waitcnt vmcnt(0)
	v_fma_mix_f32 v17, v19, v20, v17 op_sel_hi:[1,1,0]
.LBB6_37:                               ;   in Loop: Header=BB6_3 Depth=1
	s_or_b32 exec_lo, exec_lo, s12
	s_and_b32 s12, s13, s3
	s_and_b32 s11, s12, s11
	;; [unrolled: 1-line block ×4, first 2 shown]
	s_and_saveexec_b32 s11, s12
	s_cbranch_execz .LBB6_39
; %bb.38:                               ;   in Loop: Header=BB6_3 Depth=1
	global_load_ushort v19, v[3:4], off offset:34
	global_load_ushort v20, v[5:6], off offset:4
	s_waitcnt vmcnt(0)
	v_fma_mix_f32 v17, v19, v20, v17 op_sel_hi:[1,1,0]
.LBB6_39:                               ;   in Loop: Header=BB6_3 Depth=1
	s_or_b32 exec_lo, exec_lo, s11
	v_cmp_lt_i32_e64 s11, -3, v18
	v_add_nc_u32_e32 v18, 2, v18
	v_add_co_u32 v5, s12, v5, s50
	v_add_co_ci_u32_e64 v6, null, s51, v6, s12
	s_and_b32 s13, s11, s6
	v_cmp_gt_i32_e64 s6, s17, v18
	s_and_b32 s68, s13, s0
	v_add_co_u32 v5, s12, v5, s52
	v_add_co_ci_u32_e64 v6, null, s53, v6, s12
	s_and_b32 s68, s68, s6
	s_and_b32 s12, s68, s5
	s_and_b32 s68, s12, vcc_lo
	s_and_saveexec_b32 s12, s68
	s_cbranch_execz .LBB6_41
; %bb.40:                               ;   in Loop: Header=BB6_3 Depth=1
	global_load_ushort v18, v[3:4], off offset:36
	global_load_ushort v19, v[5:6], off
	s_waitcnt vmcnt(0)
	v_fma_mix_f32 v17, v18, v19, v17 op_sel_hi:[1,1,0]
.LBB6_41:                               ;   in Loop: Header=BB6_3 Depth=1
	s_or_b32 exec_lo, exec_lo, s12
	s_and_b32 s12, s13, s1
	s_and_b32 s12, s12, s6
	;; [unrolled: 1-line block ×4, first 2 shown]
	s_and_saveexec_b32 s12, s68
	s_cbranch_execz .LBB6_43
; %bb.42:                               ;   in Loop: Header=BB6_3 Depth=1
	global_load_ushort v18, v[3:4], off offset:38
	global_load_ushort v19, v[5:6], off offset:2
	s_waitcnt vmcnt(0)
	v_fma_mix_f32 v17, v18, v19, v17 op_sel_hi:[1,1,0]
.LBB6_43:                               ;   in Loop: Header=BB6_3 Depth=1
	s_or_b32 exec_lo, exec_lo, s12
	s_and_b32 s12, s13, s3
	s_and_b32 s12, s12, s6
	;; [unrolled: 1-line block ×4, first 2 shown]
	s_and_saveexec_b32 s5, s12
	s_cbranch_execz .LBB6_45
; %bb.44:                               ;   in Loop: Header=BB6_3 Depth=1
	global_load_ushort v18, v[3:4], off offset:40
	global_load_ushort v19, v[5:6], off offset:4
	s_waitcnt vmcnt(0)
	v_fma_mix_f32 v17, v18, v19, v17 op_sel_hi:[1,1,0]
.LBB6_45:                               ;   in Loop: Header=BB6_3 Depth=1
	s_or_b32 exec_lo, exec_lo, s5
	s_and_b32 s9, s11, s9
	s_and_b32 s5, s9, s0
	;; [unrolled: 1-line block ×3, first 2 shown]
	v_add_co_u32 v5, s5, v5, s50
	v_add_co_ci_u32_e64 v6, null, s51, v6, s5
	s_and_b32 s5, s12, s7
	s_and_b32 s12, s5, vcc_lo
	s_and_saveexec_b32 s5, s12
	s_cbranch_execz .LBB6_47
; %bb.46:                               ;   in Loop: Header=BB6_3 Depth=1
	global_load_ushort v18, v[3:4], off offset:42
	global_load_ushort v19, v[5:6], off
	s_waitcnt vmcnt(0)
	v_fma_mix_f32 v17, v18, v19, v17 op_sel_hi:[1,1,0]
.LBB6_47:                               ;   in Loop: Header=BB6_3 Depth=1
	s_or_b32 exec_lo, exec_lo, s5
	s_and_b32 s5, s9, s1
	s_and_b32 s5, s5, s6
	;; [unrolled: 1-line block ×4, first 2 shown]
	s_and_saveexec_b32 s5, s12
	s_cbranch_execz .LBB6_49
; %bb.48:                               ;   in Loop: Header=BB6_3 Depth=1
	global_load_ushort v18, v[3:4], off offset:44
	global_load_ushort v19, v[5:6], off offset:2
	s_waitcnt vmcnt(0)
	v_fma_mix_f32 v17, v18, v19, v17 op_sel_hi:[1,1,0]
.LBB6_49:                               ;   in Loop: Header=BB6_3 Depth=1
	s_or_b32 exec_lo, exec_lo, s5
	s_and_b32 s5, s9, s3
	s_and_b32 s5, s5, s6
	;; [unrolled: 1-line block ×4, first 2 shown]
	s_and_saveexec_b32 s5, s7
	s_cbranch_execz .LBB6_51
; %bb.50:                               ;   in Loop: Header=BB6_3 Depth=1
	global_load_ushort v18, v[3:4], off offset:46
	global_load_ushort v19, v[5:6], off offset:4
	s_waitcnt vmcnt(0)
	v_fma_mix_f32 v17, v18, v19, v17 op_sel_hi:[1,1,0]
.LBB6_51:                               ;   in Loop: Header=BB6_3 Depth=1
	s_or_b32 exec_lo, exec_lo, s5
	s_and_b32 s5, s11, s10
	s_and_b32 s0, s5, s0
	;; [unrolled: 1-line block ×3, first 2 shown]
	v_add_co_u32 v5, s0, v5, s50
	v_add_co_ci_u32_e64 v6, null, s51, v6, s0
	s_and_b32 s0, s7, s8
	s_and_b32 s7, s0, vcc_lo
	s_and_saveexec_b32 s0, s7
	s_cbranch_execz .LBB6_53
; %bb.52:                               ;   in Loop: Header=BB6_3 Depth=1
	global_load_ushort v18, v[3:4], off offset:48
	global_load_ushort v19, v[5:6], off
	s_waitcnt vmcnt(0)
	v_fma_mix_f32 v17, v18, v19, v17 op_sel_hi:[1,1,0]
.LBB6_53:                               ;   in Loop: Header=BB6_3 Depth=1
	s_or_b32 exec_lo, exec_lo, s0
	s_and_b32 s0, s5, s1
	s_and_b32 s0, s0, s6
	;; [unrolled: 1-line block ×4, first 2 shown]
	s_and_saveexec_b32 s0, s1
	s_cbranch_execz .LBB6_55
; %bb.54:                               ;   in Loop: Header=BB6_3 Depth=1
	global_load_ushort v18, v[3:4], off offset:50
	global_load_ushort v19, v[5:6], off offset:2
	s_waitcnt vmcnt(0)
	v_fma_mix_f32 v17, v18, v19, v17 op_sel_hi:[1,1,0]
.LBB6_55:                               ;   in Loop: Header=BB6_3 Depth=1
	s_or_b32 exec_lo, exec_lo, s0
	s_and_b32 s0, s5, s3
	s_and_b32 s0, s0, s6
	;; [unrolled: 1-line block ×4, first 2 shown]
	s_and_saveexec_b32 s0, s1
	s_cbranch_execz .LBB6_57
; %bb.56:                               ;   in Loop: Header=BB6_3 Depth=1
	global_load_ushort v3, v[3:4], off offset:52
	global_load_ushort v4, v[5:6], off offset:4
	s_waitcnt vmcnt(0)
	v_fma_mix_f32 v17, v3, v4, v17 op_sel_hi:[1,1,0]
.LBB6_57:                               ;   in Loop: Header=BB6_3 Depth=1
	s_or_b32 exec_lo, exec_lo, s0
	s_andn2_b32 vcc_lo, exec_lo, s56
	s_cbranch_vccnz .LBB6_2
; %bb.58:                               ;   in Loop: Header=BB6_3 Depth=1
	v_lshlrev_b64 v[2:3], 1, v[1:2]
	v_add_co_u32 v2, vcc_lo, s40, v2
	v_add_co_ci_u32_e64 v3, null, s41, v3, vcc_lo
	global_load_ushort v2, v[2:3], off
	s_waitcnt vmcnt(0)
	v_cvt_f32_f16_e32 v2, v2
	v_add_f32_e32 v17, v17, v2
	s_branch .LBB6_2
.LBB6_59:
	s_endpgm
	.section	.rodata,"a",@progbits
	.p2align	6, 0x0
	.amdhsa_kernel _ZN2at6native12_GLOBAL__N_128conv_depthwise3d_cuda_kernelIN3c104HalfEfLi3ELi3ELi3ELi1ELi1ELi1EEEvN5torch10headeronly6detail27GenericPackedTensorAccessorINS7_14TensorAccessorINS3_8ArrayRefIlEEKT_Lm4ENS6_16DefaultPtrTraitsEiEENS_6detail16IndexBoundsCheckILm5EiEESD_Lm5ESE_iEENS8_INS9_ISB_SC_Lm4ESE_iEESI_SC_Lm5ESE_iEESJ_PSD_iiiiiiiii
		.amdhsa_group_segment_fixed_size 0
		.amdhsa_private_segment_fixed_size 0
		.amdhsa_kernarg_size 448
		.amdhsa_user_sgpr_count 6
		.amdhsa_user_sgpr_private_segment_buffer 1
		.amdhsa_user_sgpr_dispatch_ptr 0
		.amdhsa_user_sgpr_queue_ptr 0
		.amdhsa_user_sgpr_kernarg_segment_ptr 1
		.amdhsa_user_sgpr_dispatch_id 0
		.amdhsa_user_sgpr_flat_scratch_init 0
		.amdhsa_user_sgpr_private_segment_size 0
		.amdhsa_wavefront_size32 1
		.amdhsa_uses_dynamic_stack 0
		.amdhsa_system_sgpr_private_segment_wavefront_offset 0
		.amdhsa_system_sgpr_workgroup_id_x 1
		.amdhsa_system_sgpr_workgroup_id_y 0
		.amdhsa_system_sgpr_workgroup_id_z 0
		.amdhsa_system_sgpr_workgroup_info 0
		.amdhsa_system_vgpr_workitem_id 0
		.amdhsa_next_free_vgpr 29
		.amdhsa_next_free_sgpr 70
		.amdhsa_reserve_vcc 1
		.amdhsa_reserve_flat_scratch 0
		.amdhsa_float_round_mode_32 0
		.amdhsa_float_round_mode_16_64 0
		.amdhsa_float_denorm_mode_32 3
		.amdhsa_float_denorm_mode_16_64 3
		.amdhsa_dx10_clamp 1
		.amdhsa_ieee_mode 1
		.amdhsa_fp16_overflow 0
		.amdhsa_workgroup_processor_mode 1
		.amdhsa_memory_ordered 1
		.amdhsa_forward_progress 1
		.amdhsa_shared_vgpr_count 0
		.amdhsa_exception_fp_ieee_invalid_op 0
		.amdhsa_exception_fp_denorm_src 0
		.amdhsa_exception_fp_ieee_div_zero 0
		.amdhsa_exception_fp_ieee_overflow 0
		.amdhsa_exception_fp_ieee_underflow 0
		.amdhsa_exception_fp_ieee_inexact 0
		.amdhsa_exception_int_div_zero 0
	.end_amdhsa_kernel
	.section	.text._ZN2at6native12_GLOBAL__N_128conv_depthwise3d_cuda_kernelIN3c104HalfEfLi3ELi3ELi3ELi1ELi1ELi1EEEvN5torch10headeronly6detail27GenericPackedTensorAccessorINS7_14TensorAccessorINS3_8ArrayRefIlEEKT_Lm4ENS6_16DefaultPtrTraitsEiEENS_6detail16IndexBoundsCheckILm5EiEESD_Lm5ESE_iEENS8_INS9_ISB_SC_Lm4ESE_iEESI_SC_Lm5ESE_iEESJ_PSD_iiiiiiiii,"axG",@progbits,_ZN2at6native12_GLOBAL__N_128conv_depthwise3d_cuda_kernelIN3c104HalfEfLi3ELi3ELi3ELi1ELi1ELi1EEEvN5torch10headeronly6detail27GenericPackedTensorAccessorINS7_14TensorAccessorINS3_8ArrayRefIlEEKT_Lm4ENS6_16DefaultPtrTraitsEiEENS_6detail16IndexBoundsCheckILm5EiEESD_Lm5ESE_iEENS8_INS9_ISB_SC_Lm4ESE_iEESI_SC_Lm5ESE_iEESJ_PSD_iiiiiiiii,comdat
.Lfunc_end6:
	.size	_ZN2at6native12_GLOBAL__N_128conv_depthwise3d_cuda_kernelIN3c104HalfEfLi3ELi3ELi3ELi1ELi1ELi1EEEvN5torch10headeronly6detail27GenericPackedTensorAccessorINS7_14TensorAccessorINS3_8ArrayRefIlEEKT_Lm4ENS6_16DefaultPtrTraitsEiEENS_6detail16IndexBoundsCheckILm5EiEESD_Lm5ESE_iEENS8_INS9_ISB_SC_Lm4ESE_iEESI_SC_Lm5ESE_iEESJ_PSD_iiiiiiiii, .Lfunc_end6-_ZN2at6native12_GLOBAL__N_128conv_depthwise3d_cuda_kernelIN3c104HalfEfLi3ELi3ELi3ELi1ELi1ELi1EEEvN5torch10headeronly6detail27GenericPackedTensorAccessorINS7_14TensorAccessorINS3_8ArrayRefIlEEKT_Lm4ENS6_16DefaultPtrTraitsEiEENS_6detail16IndexBoundsCheckILm5EiEESD_Lm5ESE_iEENS8_INS9_ISB_SC_Lm4ESE_iEESI_SC_Lm5ESE_iEESJ_PSD_iiiiiiiii
                                        ; -- End function
	.set _ZN2at6native12_GLOBAL__N_128conv_depthwise3d_cuda_kernelIN3c104HalfEfLi3ELi3ELi3ELi1ELi1ELi1EEEvN5torch10headeronly6detail27GenericPackedTensorAccessorINS7_14TensorAccessorINS3_8ArrayRefIlEEKT_Lm4ENS6_16DefaultPtrTraitsEiEENS_6detail16IndexBoundsCheckILm5EiEESD_Lm5ESE_iEENS8_INS9_ISB_SC_Lm4ESE_iEESI_SC_Lm5ESE_iEESJ_PSD_iiiiiiiii.num_vgpr, 29
	.set _ZN2at6native12_GLOBAL__N_128conv_depthwise3d_cuda_kernelIN3c104HalfEfLi3ELi3ELi3ELi1ELi1ELi1EEEvN5torch10headeronly6detail27GenericPackedTensorAccessorINS7_14TensorAccessorINS3_8ArrayRefIlEEKT_Lm4ENS6_16DefaultPtrTraitsEiEENS_6detail16IndexBoundsCheckILm5EiEESD_Lm5ESE_iEENS8_INS9_ISB_SC_Lm4ESE_iEESI_SC_Lm5ESE_iEESJ_PSD_iiiiiiiii.num_agpr, 0
	.set _ZN2at6native12_GLOBAL__N_128conv_depthwise3d_cuda_kernelIN3c104HalfEfLi3ELi3ELi3ELi1ELi1ELi1EEEvN5torch10headeronly6detail27GenericPackedTensorAccessorINS7_14TensorAccessorINS3_8ArrayRefIlEEKT_Lm4ENS6_16DefaultPtrTraitsEiEENS_6detail16IndexBoundsCheckILm5EiEESD_Lm5ESE_iEENS8_INS9_ISB_SC_Lm4ESE_iEESI_SC_Lm5ESE_iEESJ_PSD_iiiiiiiii.numbered_sgpr, 70
	.set _ZN2at6native12_GLOBAL__N_128conv_depthwise3d_cuda_kernelIN3c104HalfEfLi3ELi3ELi3ELi1ELi1ELi1EEEvN5torch10headeronly6detail27GenericPackedTensorAccessorINS7_14TensorAccessorINS3_8ArrayRefIlEEKT_Lm4ENS6_16DefaultPtrTraitsEiEENS_6detail16IndexBoundsCheckILm5EiEESD_Lm5ESE_iEENS8_INS9_ISB_SC_Lm4ESE_iEESI_SC_Lm5ESE_iEESJ_PSD_iiiiiiiii.num_named_barrier, 0
	.set _ZN2at6native12_GLOBAL__N_128conv_depthwise3d_cuda_kernelIN3c104HalfEfLi3ELi3ELi3ELi1ELi1ELi1EEEvN5torch10headeronly6detail27GenericPackedTensorAccessorINS7_14TensorAccessorINS3_8ArrayRefIlEEKT_Lm4ENS6_16DefaultPtrTraitsEiEENS_6detail16IndexBoundsCheckILm5EiEESD_Lm5ESE_iEENS8_INS9_ISB_SC_Lm4ESE_iEESI_SC_Lm5ESE_iEESJ_PSD_iiiiiiiii.private_seg_size, 0
	.set _ZN2at6native12_GLOBAL__N_128conv_depthwise3d_cuda_kernelIN3c104HalfEfLi3ELi3ELi3ELi1ELi1ELi1EEEvN5torch10headeronly6detail27GenericPackedTensorAccessorINS7_14TensorAccessorINS3_8ArrayRefIlEEKT_Lm4ENS6_16DefaultPtrTraitsEiEENS_6detail16IndexBoundsCheckILm5EiEESD_Lm5ESE_iEENS8_INS9_ISB_SC_Lm4ESE_iEESI_SC_Lm5ESE_iEESJ_PSD_iiiiiiiii.uses_vcc, 1
	.set _ZN2at6native12_GLOBAL__N_128conv_depthwise3d_cuda_kernelIN3c104HalfEfLi3ELi3ELi3ELi1ELi1ELi1EEEvN5torch10headeronly6detail27GenericPackedTensorAccessorINS7_14TensorAccessorINS3_8ArrayRefIlEEKT_Lm4ENS6_16DefaultPtrTraitsEiEENS_6detail16IndexBoundsCheckILm5EiEESD_Lm5ESE_iEENS8_INS9_ISB_SC_Lm4ESE_iEESI_SC_Lm5ESE_iEESJ_PSD_iiiiiiiii.uses_flat_scratch, 0
	.set _ZN2at6native12_GLOBAL__N_128conv_depthwise3d_cuda_kernelIN3c104HalfEfLi3ELi3ELi3ELi1ELi1ELi1EEEvN5torch10headeronly6detail27GenericPackedTensorAccessorINS7_14TensorAccessorINS3_8ArrayRefIlEEKT_Lm4ENS6_16DefaultPtrTraitsEiEENS_6detail16IndexBoundsCheckILm5EiEESD_Lm5ESE_iEENS8_INS9_ISB_SC_Lm4ESE_iEESI_SC_Lm5ESE_iEESJ_PSD_iiiiiiiii.has_dyn_sized_stack, 0
	.set _ZN2at6native12_GLOBAL__N_128conv_depthwise3d_cuda_kernelIN3c104HalfEfLi3ELi3ELi3ELi1ELi1ELi1EEEvN5torch10headeronly6detail27GenericPackedTensorAccessorINS7_14TensorAccessorINS3_8ArrayRefIlEEKT_Lm4ENS6_16DefaultPtrTraitsEiEENS_6detail16IndexBoundsCheckILm5EiEESD_Lm5ESE_iEENS8_INS9_ISB_SC_Lm4ESE_iEESI_SC_Lm5ESE_iEESJ_PSD_iiiiiiiii.has_recursion, 0
	.set _ZN2at6native12_GLOBAL__N_128conv_depthwise3d_cuda_kernelIN3c104HalfEfLi3ELi3ELi3ELi1ELi1ELi1EEEvN5torch10headeronly6detail27GenericPackedTensorAccessorINS7_14TensorAccessorINS3_8ArrayRefIlEEKT_Lm4ENS6_16DefaultPtrTraitsEiEENS_6detail16IndexBoundsCheckILm5EiEESD_Lm5ESE_iEENS8_INS9_ISB_SC_Lm4ESE_iEESI_SC_Lm5ESE_iEESJ_PSD_iiiiiiiii.has_indirect_call, 0
	.section	.AMDGPU.csdata,"",@progbits
; Kernel info:
; codeLenInByte = 3512
; TotalNumSgprs: 72
; NumVgprs: 29
; ScratchSize: 0
; MemoryBound: 0
; FloatMode: 240
; IeeeMode: 1
; LDSByteSize: 0 bytes/workgroup (compile time only)
; SGPRBlocks: 0
; VGPRBlocks: 3
; NumSGPRsForWavesPerEU: 72
; NumVGPRsForWavesPerEU: 29
; Occupancy: 16
; WaveLimiterHint : 0
; COMPUTE_PGM_RSRC2:SCRATCH_EN: 0
; COMPUTE_PGM_RSRC2:USER_SGPR: 6
; COMPUTE_PGM_RSRC2:TRAP_HANDLER: 0
; COMPUTE_PGM_RSRC2:TGID_X_EN: 1
; COMPUTE_PGM_RSRC2:TGID_Y_EN: 0
; COMPUTE_PGM_RSRC2:TGID_Z_EN: 0
; COMPUTE_PGM_RSRC2:TIDIG_COMP_CNT: 0
	.section	.text._ZN2at6native12_GLOBAL__N_128conv_depthwise3d_cuda_kernelIN3c104HalfEfLin1ELin1ELin1ELi1ELi1ELi1EEEvN5torch10headeronly6detail27GenericPackedTensorAccessorINS7_14TensorAccessorINS3_8ArrayRefIlEEKT_Lm4ENS6_16DefaultPtrTraitsEiEENS_6detail16IndexBoundsCheckILm5EiEESD_Lm5ESE_iEENS8_INS9_ISB_SC_Lm4ESE_iEESI_SC_Lm5ESE_iEESJ_PSD_iiiiiiiii,"axG",@progbits,_ZN2at6native12_GLOBAL__N_128conv_depthwise3d_cuda_kernelIN3c104HalfEfLin1ELin1ELin1ELi1ELi1ELi1EEEvN5torch10headeronly6detail27GenericPackedTensorAccessorINS7_14TensorAccessorINS3_8ArrayRefIlEEKT_Lm4ENS6_16DefaultPtrTraitsEiEENS_6detail16IndexBoundsCheckILm5EiEESD_Lm5ESE_iEENS8_INS9_ISB_SC_Lm4ESE_iEESI_SC_Lm5ESE_iEESJ_PSD_iiiiiiiii,comdat
	.globl	_ZN2at6native12_GLOBAL__N_128conv_depthwise3d_cuda_kernelIN3c104HalfEfLin1ELin1ELin1ELi1ELi1ELi1EEEvN5torch10headeronly6detail27GenericPackedTensorAccessorINS7_14TensorAccessorINS3_8ArrayRefIlEEKT_Lm4ENS6_16DefaultPtrTraitsEiEENS_6detail16IndexBoundsCheckILm5EiEESD_Lm5ESE_iEENS8_INS9_ISB_SC_Lm4ESE_iEESI_SC_Lm5ESE_iEESJ_PSD_iiiiiiiii ; -- Begin function _ZN2at6native12_GLOBAL__N_128conv_depthwise3d_cuda_kernelIN3c104HalfEfLin1ELin1ELin1ELi1ELi1ELi1EEEvN5torch10headeronly6detail27GenericPackedTensorAccessorINS7_14TensorAccessorINS3_8ArrayRefIlEEKT_Lm4ENS6_16DefaultPtrTraitsEiEENS_6detail16IndexBoundsCheckILm5EiEESD_Lm5ESE_iEENS8_INS9_ISB_SC_Lm4ESE_iEESI_SC_Lm5ESE_iEESJ_PSD_iiiiiiiii
	.p2align	8
	.type	_ZN2at6native12_GLOBAL__N_128conv_depthwise3d_cuda_kernelIN3c104HalfEfLin1ELin1ELin1ELi1ELi1ELi1EEEvN5torch10headeronly6detail27GenericPackedTensorAccessorINS7_14TensorAccessorINS3_8ArrayRefIlEEKT_Lm4ENS6_16DefaultPtrTraitsEiEENS_6detail16IndexBoundsCheckILm5EiEESD_Lm5ESE_iEENS8_INS9_ISB_SC_Lm4ESE_iEESI_SC_Lm5ESE_iEESJ_PSD_iiiiiiiii,@function
_ZN2at6native12_GLOBAL__N_128conv_depthwise3d_cuda_kernelIN3c104HalfEfLin1ELin1ELin1ELi1ELi1ELi1EEEvN5torch10headeronly6detail27GenericPackedTensorAccessorINS7_14TensorAccessorINS3_8ArrayRefIlEEKT_Lm4ENS6_16DefaultPtrTraitsEiEENS_6detail16IndexBoundsCheckILm5EiEESD_Lm5ESE_iEENS8_INS9_ISB_SC_Lm4ESE_iEESI_SC_Lm5ESE_iEESJ_PSD_iiiiiiiii: ; @_ZN2at6native12_GLOBAL__N_128conv_depthwise3d_cuda_kernelIN3c104HalfEfLin1ELin1ELin1ELi1ELi1ELi1EEEvN5torch10headeronly6detail27GenericPackedTensorAccessorINS7_14TensorAccessorINS3_8ArrayRefIlEEKT_Lm4ENS6_16DefaultPtrTraitsEiEENS_6detail16IndexBoundsCheckILm5EiEESD_Lm5ESE_iEENS8_INS9_ISB_SC_Lm4ESE_iEESI_SC_Lm5ESE_iEESJ_PSD_iiiiiiiii
; %bb.0:
	s_clause 0x3
	s_load_dwordx4 s[8:11], s[4:5], 0xc
	s_load_dword s3, s[4:5], 0xcc
	s_load_dwordx4 s[12:15], s[4:5], 0x38
	s_load_dwordx2 s[28:29], s[4:5], 0x48
	s_waitcnt lgkmcnt(0)
	s_abs_i32 s2, s8
	s_add_u32 s0, s4, 0xc0
	v_cvt_f32_u32_e32 v1, s2
	s_addc_u32 s1, s5, 0
	s_and_b32 s44, s3, 0xffff
	s_mul_i32 s30, s29, s12
	s_ashr_i32 s31, s30, 31
	v_rcp_iflag_f32_e32 v2, v1
	v_mov_b32_e32 v1, 0
	v_mad_u64_u32 v[0:1], null, s44, s6, v[0:1]
	s_mov_b32 s6, exec_lo
	v_mul_f32_e32 v2, 0x4f7ffffe, v2
	v_cvt_u32_f32_e32 v2, v2
	v_readfirstlane_b32 s3, v2
	v_cmpx_gt_i64_e64 s[30:31], v[0:1]
	s_cbranch_execz .LBB7_17
; %bb.1:
	s_sub_i32 s6, 0, s2
	s_abs_i32 s33, s13
	s_mul_i32 s6, s6, s3
	s_clause 0x1
	s_load_dwordx4 s[16:19], s[4:5], 0x70
	s_load_dwordx2 s[34:35], s[4:5], 0x90
	s_mul_hi_u32 s6, s3, s6
	s_ashr_i32 s12, s13, 31
	s_add_i32 s3, s3, s6
	s_ashr_i32 s6, s8, 31
	s_mul_hi_u32 s3, s33, s3
	s_xor_b32 s6, s12, s6
	s_mul_i32 s7, s3, s2
	s_add_i32 s8, s3, 1
	s_sub_i32 s7, s33, s7
	v_cvt_f32_u32_e32 v2, s33
	s_waitcnt lgkmcnt(0)
	s_sub_i32 s19, s7, s2
	s_cmp_ge_u32 s7, s2
	s_load_dword s0, s[0:1], 0x0
	s_cselect_b32 s3, s8, s3
	s_cselect_b32 s7, s19, s7
	s_add_i32 s8, s3, 1
	s_cmp_ge_u32 s7, s2
	v_rcp_iflag_f32_e32 v2, v2
	s_cselect_b32 s2, s8, s3
	s_clause 0x1
	s_load_dword s8, s[4:5], 0x7c
	s_load_dwordx4 s[20:23], s[4:5], 0x98
	s_xor_b32 s2, s2, s6
	s_load_dwordx2 s[36:37], s[4:5], 0xa8
	s_sub_i32 s45, s2, s6
	s_cmp_gt_i32 s16, 0
	s_clause 0x1
	s_load_dwordx2 s[38:39], s[4:5], 0x0
	s_load_dwordx4 s[24:27], s[4:5], 0x1c
	s_cselect_b32 s19, -1, 0
	s_cmp_gt_i32 s17, 0
	v_mul_f32_e32 v2, 0x4f7ffffe, v2
	s_cselect_b32 s48, -1, 0
	s_cmp_gt_i32 s18, 0
	s_clause 0x1
	s_load_dword s55, s[4:5], 0x2c
	s_load_dwordx2 s[40:41], s[4:5], 0x30
	s_cselect_b32 s49, -1, 0
	s_sub_i32 s3, s10, s17
	s_sub_i32 s2, s11, s18
	s_mul_i32 s46, s11, s3
	s_ashr_i32 s3, s2, 31
	s_ashr_i32 s47, s46, 31
	s_cmp_lg_u64 s[34:35], 0
	v_cvt_u32_f32_e32 v2, v2
	s_cselect_b32 s50, -1, 0
	s_abs_i32 s51, s28
	s_abs_i32 s52, s15
	v_cvt_f32_u32_e32 v3, s51
	s_abs_i32 s53, s14
	v_cvt_f32_u32_e32 v4, s52
	v_cvt_f32_u32_e32 v5, s53
	s_abs_i32 s54, s45
	v_rcp_iflag_f32_e32 v3, v3
	v_cvt_f32_u32_e32 v6, s54
	v_rcp_iflag_f32_e32 v4, v4
	v_rcp_iflag_f32_e32 v5, v5
	s_sub_i32 s1, 0, s51
	s_sub_i32 s6, 0, s52
	v_rcp_iflag_f32_e32 v6, v6
	s_mov_b32 s56, 0
	s_waitcnt lgkmcnt(0)
	s_mul_i32 s57, s0, s44
	s_ashr_i32 s58, s28, 31
	v_mul_f32_e32 v3, 0x4f7ffffe, v3
	s_ashr_i32 s59, s15, 31
	v_mul_f32_e32 v4, 0x4f7ffffe, v4
	v_mul_f32_e32 v5, 0x4f7ffffe, v5
	s_ashr_i32 s60, s14, 31
	v_cvt_u32_f32_e32 v3, v3
	v_mul_f32_e32 v6, 0x4f7ffffe, v6
	v_cvt_u32_f32_e32 v4, v4
	v_cvt_u32_f32_e32 v5, v5
	s_ashr_i32 s61, s45, 31
	v_mul_lo_u32 v7, s1, v3
	v_cvt_u32_f32_e32 v6, v6
	s_sub_i32 s1, 0, s53
	v_mul_lo_u32 v8, s6, v4
	v_mul_lo_u32 v9, s1, v5
	s_sub_i32 s1, 0, s33
	s_sub_i32 s6, 0, s54
	v_mul_lo_u32 v10, s1, v2
	v_mul_lo_u32 v11, s6, v6
	s_clause 0x1
	s_load_dwordx2 s[42:43], s[4:5], 0x60
	s_load_dwordx4 s[4:7], s[4:5], 0x50
	v_mul_hi_u32 v7, v3, v7
	v_mul_hi_u32 v12, v4, v8
	;; [unrolled: 1-line block ×3, first 2 shown]
	s_lshl_b64 s[44:45], s[2:3], 1
	s_lshl_b64 s[46:47], s[46:47], 1
	v_mul_hi_u32 v14, v2, v10
	v_mul_hi_u32 v15, v6, v11
	v_add_nc_u32_e32 v8, v3, v7
	v_add_nc_u32_e32 v9, v4, v12
	;; [unrolled: 1-line block ×5, first 2 shown]
	s_branch .LBB7_3
.LBB7_2:                                ;   in Loop: Header=BB7_3 Depth=1
	v_mul_lo_u32 v3, v16, s29
	s_waitcnt lgkmcnt(0)
	v_mul_lo_u32 v5, s4, v2
	v_mul_lo_u32 v2, s5, v15
	v_cvt_f16_f32_e32 v7, v19
	v_mul_lo_u32 v14, s6, v14
	v_add_co_u32 v0, vcc_lo, v0, s57
	v_add_co_ci_u32_e64 v1, null, 0, v1, vcc_lo
	v_ashrrev_i32_e32 v4, 31, v3
	v_ashrrev_i32_e32 v6, 31, v5
	v_mul_lo_u32 v16, s7, v13
	v_ashrrev_i32_e32 v15, 31, v14
	v_lshlrev_b64 v[18:19], 1, v[3:4]
	v_ashrrev_i32_e32 v3, 31, v2
	v_lshlrev_b64 v[4:5], 1, v[5:6]
	v_ashrrev_i32_e32 v17, 31, v16
	v_add_co_u32 v6, vcc_lo, s40, v18
	v_add_co_ci_u32_e64 v13, null, s41, v19, vcc_lo
	v_lshlrev_b64 v[2:3], 1, v[2:3]
	v_add_co_u32 v6, vcc_lo, v6, v4
	v_add_co_ci_u32_e64 v13, null, v13, v5, vcc_lo
	v_lshlrev_b64 v[4:5], 1, v[14:15]
	;; [unrolled: 3-line block ×3, first 2 shown]
	v_add_co_u32 v4, vcc_lo, v6, v4
	v_add_co_ci_u32_e64 v5, null, v13, v5, vcc_lo
	v_cmp_le_i64_e32 vcc_lo, s[30:31], v[0:1]
	v_add_co_u32 v2, s0, v4, v2
	v_add_co_ci_u32_e64 v3, null, v5, v3, s0
	s_or_b32 s56, vcc_lo, s56
	global_store_short v[2:3], v7, off
	s_andn2_b32 exec_lo, exec_lo, s56
	s_cbranch_execz .LBB7_17
.LBB7_3:                                ; =>This Loop Header: Depth=1
                                        ;     Child Loop BB7_6 Depth 2
                                        ;       Child Loop BB7_9 Depth 3
                                        ;         Child Loop BB7_12 Depth 4
	v_sub_nc_u32_e32 v2, 0, v0
	v_max_i32_e32 v2, v0, v2
	v_mul_hi_u32 v3, v2, v8
	v_mul_lo_u32 v4, v3, s51
	v_sub_nc_u32_e32 v2, v2, v4
	v_add_nc_u32_e32 v4, 1, v3
	v_subrev_nc_u32_e32 v5, s51, v2
	v_cmp_le_u32_e32 vcc_lo, s51, v2
	v_cndmask_b32_e32 v3, v3, v4, vcc_lo
	v_cndmask_b32_e32 v2, v2, v5, vcc_lo
	v_ashrrev_i32_e32 v4, 31, v0
	v_add_nc_u32_e32 v5, 1, v3
	v_cmp_le_u32_e32 vcc_lo, s51, v2
	v_xor_b32_e32 v4, s58, v4
	v_cndmask_b32_e32 v2, v3, v5, vcc_lo
	v_xor_b32_e32 v2, v2, v4
	v_sub_nc_u32_e32 v3, v2, v4
	v_sub_nc_u32_e32 v2, 0, v3
	v_max_i32_e32 v2, v3, v2
	v_mul_hi_u32 v4, v2, v9
	v_mul_lo_u32 v5, v4, s52
	v_sub_nc_u32_e32 v2, v2, v5
	v_add_nc_u32_e32 v5, 1, v4
	v_subrev_nc_u32_e32 v6, s52, v2
	v_cmp_le_u32_e32 vcc_lo, s52, v2
	v_cndmask_b32_e32 v4, v4, v5, vcc_lo
	v_cndmask_b32_e32 v2, v2, v6, vcc_lo
	v_ashrrev_i32_e32 v5, 31, v3
	v_add_nc_u32_e32 v6, 1, v4
	v_cmp_le_u32_e32 vcc_lo, s52, v2
	v_xor_b32_e32 v5, s59, v5
	v_cndmask_b32_e32 v2, v4, v6, vcc_lo
	v_xor_b32_e32 v2, v2, v5
	v_sub_nc_u32_e32 v4, v2, v5
	;; [unrolled: 17-line block ×3, first 2 shown]
	v_sub_nc_u32_e32 v5, 0, v2
	v_mul_lo_u32 v15, v2, s14
	v_max_i32_e32 v5, v2, v5
	v_sub_nc_u32_e32 v15, v4, v15
	v_mul_hi_u32 v6, v5, v11
	v_mul_lo_u32 v7, v6, s33
	v_sub_nc_u32_e32 v5, v5, v7
	v_add_nc_u32_e32 v7, 1, v6
	v_subrev_nc_u32_e32 v13, s33, v5
	v_cmp_le_u32_e32 vcc_lo, s33, v5
	v_cndmask_b32_e32 v6, v6, v7, vcc_lo
	v_cndmask_b32_e32 v5, v5, v13, vcc_lo
	v_ashrrev_i32_e32 v7, 31, v2
	v_add_nc_u32_e32 v13, 1, v6
	v_cmp_le_u32_e32 vcc_lo, s33, v5
	v_xor_b32_e32 v7, s12, v7
	v_cndmask_b32_e32 v5, v6, v13, vcc_lo
	v_mul_lo_u32 v6, v3, s28
	s_andn2_b32 vcc_lo, exec_lo, s19
	v_xor_b32_e32 v5, v5, v7
	v_sub_nc_u32_e32 v13, v0, v6
	v_sub_nc_u32_e32 v16, v5, v7
	v_mul_lo_u32 v7, v4, s15
	v_mul_lo_u32 v5, v16, s13
	v_sub_nc_u32_e32 v14, v3, v7
	v_sub_nc_u32_e32 v2, v2, v5
	v_ashrrev_i32_e32 v3, 31, v2
	s_cbranch_vccnz .LBB7_14
; %bb.4:                                ;   in Loop: Header=BB7_3 Depth=1
	v_sub_nc_u32_e32 v4, 0, v2
	v_mul_lo_u32 v17, v15, s20
	v_mul_lo_u32 v18, v14, s21
	s_mov_b32 s3, 0
	v_max_i32_e32 v4, v2, v4
	v_subrev_nc_u32_e32 v17, s23, v17
	v_mul_hi_u32 v5, v4, v12
	v_subrev_nc_u32_e32 v18, s36, v18
	v_mul_lo_u32 v23, s26, v17
	v_mul_lo_u32 v25, s27, v18
	;; [unrolled: 1-line block ×3, first 2 shown]
	v_ashrrev_i32_e32 v24, 31, v23
	v_ashrrev_i32_e32 v26, 31, v25
	v_sub_nc_u32_e32 v4, v4, v6
	v_add_nc_u32_e32 v6, 1, v5
	v_subrev_nc_u32_e32 v7, s54, v4
	v_cmp_le_u32_e32 vcc_lo, s54, v4
	v_cndmask_b32_e32 v5, v5, v6, vcc_lo
	v_cndmask_b32_e32 v4, v4, v7, vcc_lo
	v_xor_b32_e32 v7, s61, v3
	v_add_nc_u32_e32 v6, 1, v5
	v_cmp_le_u32_e32 vcc_lo, s54, v4
	v_cndmask_b32_e32 v4, v5, v6, vcc_lo
	v_mul_lo_u32 v6, s8, v2
	v_xor_b32_e32 v5, v4, v7
	v_mul_lo_u32 v4, s24, v16
	v_sub_nc_u32_e32 v5, v5, v7
	v_mul_lo_u32 v7, v13, s22
	v_mul_lo_u32 v21, s25, v5
	v_ashrrev_i32_e32 v5, 31, v4
	v_subrev_nc_u32_e32 v20, s37, v7
	v_ashrrev_i32_e32 v7, 31, v6
	v_lshlrev_b64 v[4:5], 1, v[4:5]
	v_ashrrev_i32_e32 v22, 31, v21
	v_mul_lo_u32 v27, s55, v20
	v_lshlrev_b64 v[6:7], 1, v[6:7]
	v_add_co_u32 v19, vcc_lo, s38, v4
	v_lshlrev_b64 v[21:22], 1, v[21:22]
	v_add_co_ci_u32_e64 v29, null, s39, v5, vcc_lo
	v_lshlrev_b64 v[4:5], 1, v[23:24]
	v_ashrrev_i32_e32 v28, 31, v27
	v_add_co_u32 v19, vcc_lo, v19, v21
	v_add_co_ci_u32_e64 v23, null, v29, v22, vcc_lo
	v_lshlrev_b64 v[21:22], 1, v[25:26]
	v_add_co_u32 v4, vcc_lo, v19, v4
	v_add_co_ci_u32_e64 v5, null, v23, v5, vcc_lo
	v_lshlrev_b64 v[23:24], 1, v[27:28]
	v_add_co_u32 v19, vcc_lo, v4, v21
	v_add_co_ci_u32_e64 v21, null, v5, v22, vcc_lo
	s_waitcnt lgkmcnt(0)
	v_add_co_u32 v4, vcc_lo, s42, v6
	v_add_co_ci_u32_e64 v5, null, s43, v7, vcc_lo
	v_add_co_u32 v6, vcc_lo, v19, v23
	v_add_co_ci_u32_e64 v7, null, v21, v24, vcc_lo
	v_mov_b32_e32 v19, 0
	s_branch .LBB7_6
.LBB7_5:                                ;   in Loop: Header=BB7_6 Depth=2
	s_inst_prefetch 0x2
	v_add_co_u32 v6, vcc_lo, v6, s46
	v_add_co_ci_u32_e64 v7, null, s47, v7, vcc_lo
	s_add_i32 s3, s3, 1
	s_cmp_eq_u32 s3, s16
	s_cbranch_scc1 .LBB7_15
.LBB7_6:                                ;   Parent Loop BB7_3 Depth=1
                                        ; =>  This Loop Header: Depth=2
                                        ;       Child Loop BB7_9 Depth 3
                                        ;         Child Loop BB7_12 Depth 4
	s_andn2_b32 vcc_lo, exec_lo, s48
	s_cbranch_vccnz .LBB7_5
; %bb.7:                                ;   in Loop: Header=BB7_6 Depth=2
	v_add_nc_u32_e32 v21, s3, v17
	s_mov_b32 s62, 0
	v_cmp_lt_i32_e64 s0, -1, v21
	v_cmp_gt_i32_e64 s1, s9, v21
	s_inst_prefetch 0x1
	s_branch .LBB7_9
	.p2align	6
.LBB7_8:                                ;   in Loop: Header=BB7_9 Depth=3
	v_add_co_u32 v6, vcc_lo, v6, s44
	v_add_co_ci_u32_e64 v7, null, s45, v7, vcc_lo
	s_add_i32 s62, s62, 1
	s_cmp_eq_u32 s62, s17
	s_cbranch_scc1 .LBB7_5
.LBB7_9:                                ;   Parent Loop BB7_3 Depth=1
                                        ;     Parent Loop BB7_6 Depth=2
                                        ; =>    This Loop Header: Depth=3
                                        ;         Child Loop BB7_12 Depth 4
	s_andn2_b32 vcc_lo, exec_lo, s49
	s_cbranch_vccnz .LBB7_8
; %bb.10:                               ;   in Loop: Header=BB7_9 Depth=3
	v_add_nc_u32_e32 v22, s62, v18
	v_mov_b32_e32 v21, v20
	s_mov_b32 s64, s18
	v_cmp_lt_i32_e64 s2, -1, v22
	v_cmp_gt_i32_e32 vcc_lo, s10, v22
	s_and_b32 s63, s0, s2
	s_branch .LBB7_12
	.p2align	6
.LBB7_11:                               ;   in Loop: Header=BB7_12 Depth=4
	s_or_b32 exec_lo, exec_lo, s2
	v_add_co_u32 v4, s2, v4, 2
	v_add_co_ci_u32_e64 v5, null, 0, v5, s2
	v_add_co_u32 v6, s2, v6, 2
	v_add_co_ci_u32_e64 v7, null, 0, v7, s2
	v_add_nc_u32_e32 v21, 1, v21
	s_add_i32 s64, s64, -1
	s_cmp_eq_u32 s64, 0
	s_cbranch_scc1 .LBB7_8
.LBB7_12:                               ;   Parent Loop BB7_3 Depth=1
                                        ;     Parent Loop BB7_6 Depth=2
                                        ;       Parent Loop BB7_9 Depth=3
                                        ; =>      This Inner Loop Header: Depth=4
	v_cmp_lt_i32_e64 s2, -1, v21
	s_and_b32 s65, s63, s2
	v_cmp_gt_i32_e64 s2, s11, v21
	s_and_b32 s65, s65, s1
	s_and_b32 s65, s65, vcc_lo
	s_and_b32 s65, s65, s2
	s_and_saveexec_b32 s2, s65
	s_cbranch_execz .LBB7_11
; %bb.13:                               ;   in Loop: Header=BB7_12 Depth=4
	global_load_ushort v22, v[4:5], off
	global_load_ushort v23, v[6:7], off
	s_waitcnt vmcnt(0)
	v_fma_mix_f32 v19, v22, v23, v19 op_sel_hi:[1,1,0]
	s_branch .LBB7_11
.LBB7_14:                               ;   in Loop: Header=BB7_3 Depth=1
	v_mov_b32_e32 v19, 0
.LBB7_15:                               ;   in Loop: Header=BB7_3 Depth=1
	s_and_b32 vcc_lo, exec_lo, s50
	s_cbranch_vccz .LBB7_2
; %bb.16:                               ;   in Loop: Header=BB7_3 Depth=1
	v_lshlrev_b64 v[3:4], 1, v[2:3]
	v_add_co_u32 v3, vcc_lo, s34, v3
	v_add_co_ci_u32_e64 v4, null, s35, v4, vcc_lo
	global_load_ushort v3, v[3:4], off
	s_waitcnt vmcnt(0)
	v_cvt_f32_f16_e32 v3, v3
	v_add_f32_e32 v19, v19, v3
	s_branch .LBB7_2
.LBB7_17:
	s_endpgm
	.section	.rodata,"a",@progbits
	.p2align	6, 0x0
	.amdhsa_kernel _ZN2at6native12_GLOBAL__N_128conv_depthwise3d_cuda_kernelIN3c104HalfEfLin1ELin1ELin1ELi1ELi1ELi1EEEvN5torch10headeronly6detail27GenericPackedTensorAccessorINS7_14TensorAccessorINS3_8ArrayRefIlEEKT_Lm4ENS6_16DefaultPtrTraitsEiEENS_6detail16IndexBoundsCheckILm5EiEESD_Lm5ESE_iEENS8_INS9_ISB_SC_Lm4ESE_iEESI_SC_Lm5ESE_iEESJ_PSD_iiiiiiiii
		.amdhsa_group_segment_fixed_size 0
		.amdhsa_private_segment_fixed_size 0
		.amdhsa_kernarg_size 448
		.amdhsa_user_sgpr_count 6
		.amdhsa_user_sgpr_private_segment_buffer 1
		.amdhsa_user_sgpr_dispatch_ptr 0
		.amdhsa_user_sgpr_queue_ptr 0
		.amdhsa_user_sgpr_kernarg_segment_ptr 1
		.amdhsa_user_sgpr_dispatch_id 0
		.amdhsa_user_sgpr_flat_scratch_init 0
		.amdhsa_user_sgpr_private_segment_size 0
		.amdhsa_wavefront_size32 1
		.amdhsa_uses_dynamic_stack 0
		.amdhsa_system_sgpr_private_segment_wavefront_offset 0
		.amdhsa_system_sgpr_workgroup_id_x 1
		.amdhsa_system_sgpr_workgroup_id_y 0
		.amdhsa_system_sgpr_workgroup_id_z 0
		.amdhsa_system_sgpr_workgroup_info 0
		.amdhsa_system_vgpr_workitem_id 0
		.amdhsa_next_free_vgpr 30
		.amdhsa_next_free_sgpr 66
		.amdhsa_reserve_vcc 1
		.amdhsa_reserve_flat_scratch 0
		.amdhsa_float_round_mode_32 0
		.amdhsa_float_round_mode_16_64 0
		.amdhsa_float_denorm_mode_32 3
		.amdhsa_float_denorm_mode_16_64 3
		.amdhsa_dx10_clamp 1
		.amdhsa_ieee_mode 1
		.amdhsa_fp16_overflow 0
		.amdhsa_workgroup_processor_mode 1
		.amdhsa_memory_ordered 1
		.amdhsa_forward_progress 1
		.amdhsa_shared_vgpr_count 0
		.amdhsa_exception_fp_ieee_invalid_op 0
		.amdhsa_exception_fp_denorm_src 0
		.amdhsa_exception_fp_ieee_div_zero 0
		.amdhsa_exception_fp_ieee_overflow 0
		.amdhsa_exception_fp_ieee_underflow 0
		.amdhsa_exception_fp_ieee_inexact 0
		.amdhsa_exception_int_div_zero 0
	.end_amdhsa_kernel
	.section	.text._ZN2at6native12_GLOBAL__N_128conv_depthwise3d_cuda_kernelIN3c104HalfEfLin1ELin1ELin1ELi1ELi1ELi1EEEvN5torch10headeronly6detail27GenericPackedTensorAccessorINS7_14TensorAccessorINS3_8ArrayRefIlEEKT_Lm4ENS6_16DefaultPtrTraitsEiEENS_6detail16IndexBoundsCheckILm5EiEESD_Lm5ESE_iEENS8_INS9_ISB_SC_Lm4ESE_iEESI_SC_Lm5ESE_iEESJ_PSD_iiiiiiiii,"axG",@progbits,_ZN2at6native12_GLOBAL__N_128conv_depthwise3d_cuda_kernelIN3c104HalfEfLin1ELin1ELin1ELi1ELi1ELi1EEEvN5torch10headeronly6detail27GenericPackedTensorAccessorINS7_14TensorAccessorINS3_8ArrayRefIlEEKT_Lm4ENS6_16DefaultPtrTraitsEiEENS_6detail16IndexBoundsCheckILm5EiEESD_Lm5ESE_iEENS8_INS9_ISB_SC_Lm4ESE_iEESI_SC_Lm5ESE_iEESJ_PSD_iiiiiiiii,comdat
.Lfunc_end7:
	.size	_ZN2at6native12_GLOBAL__N_128conv_depthwise3d_cuda_kernelIN3c104HalfEfLin1ELin1ELin1ELi1ELi1ELi1EEEvN5torch10headeronly6detail27GenericPackedTensorAccessorINS7_14TensorAccessorINS3_8ArrayRefIlEEKT_Lm4ENS6_16DefaultPtrTraitsEiEENS_6detail16IndexBoundsCheckILm5EiEESD_Lm5ESE_iEENS8_INS9_ISB_SC_Lm4ESE_iEESI_SC_Lm5ESE_iEESJ_PSD_iiiiiiiii, .Lfunc_end7-_ZN2at6native12_GLOBAL__N_128conv_depthwise3d_cuda_kernelIN3c104HalfEfLin1ELin1ELin1ELi1ELi1ELi1EEEvN5torch10headeronly6detail27GenericPackedTensorAccessorINS7_14TensorAccessorINS3_8ArrayRefIlEEKT_Lm4ENS6_16DefaultPtrTraitsEiEENS_6detail16IndexBoundsCheckILm5EiEESD_Lm5ESE_iEENS8_INS9_ISB_SC_Lm4ESE_iEESI_SC_Lm5ESE_iEESJ_PSD_iiiiiiiii
                                        ; -- End function
	.set _ZN2at6native12_GLOBAL__N_128conv_depthwise3d_cuda_kernelIN3c104HalfEfLin1ELin1ELin1ELi1ELi1ELi1EEEvN5torch10headeronly6detail27GenericPackedTensorAccessorINS7_14TensorAccessorINS3_8ArrayRefIlEEKT_Lm4ENS6_16DefaultPtrTraitsEiEENS_6detail16IndexBoundsCheckILm5EiEESD_Lm5ESE_iEENS8_INS9_ISB_SC_Lm4ESE_iEESI_SC_Lm5ESE_iEESJ_PSD_iiiiiiiii.num_vgpr, 30
	.set _ZN2at6native12_GLOBAL__N_128conv_depthwise3d_cuda_kernelIN3c104HalfEfLin1ELin1ELin1ELi1ELi1ELi1EEEvN5torch10headeronly6detail27GenericPackedTensorAccessorINS7_14TensorAccessorINS3_8ArrayRefIlEEKT_Lm4ENS6_16DefaultPtrTraitsEiEENS_6detail16IndexBoundsCheckILm5EiEESD_Lm5ESE_iEENS8_INS9_ISB_SC_Lm4ESE_iEESI_SC_Lm5ESE_iEESJ_PSD_iiiiiiiii.num_agpr, 0
	.set _ZN2at6native12_GLOBAL__N_128conv_depthwise3d_cuda_kernelIN3c104HalfEfLin1ELin1ELin1ELi1ELi1ELi1EEEvN5torch10headeronly6detail27GenericPackedTensorAccessorINS7_14TensorAccessorINS3_8ArrayRefIlEEKT_Lm4ENS6_16DefaultPtrTraitsEiEENS_6detail16IndexBoundsCheckILm5EiEESD_Lm5ESE_iEENS8_INS9_ISB_SC_Lm4ESE_iEESI_SC_Lm5ESE_iEESJ_PSD_iiiiiiiii.numbered_sgpr, 66
	.set _ZN2at6native12_GLOBAL__N_128conv_depthwise3d_cuda_kernelIN3c104HalfEfLin1ELin1ELin1ELi1ELi1ELi1EEEvN5torch10headeronly6detail27GenericPackedTensorAccessorINS7_14TensorAccessorINS3_8ArrayRefIlEEKT_Lm4ENS6_16DefaultPtrTraitsEiEENS_6detail16IndexBoundsCheckILm5EiEESD_Lm5ESE_iEENS8_INS9_ISB_SC_Lm4ESE_iEESI_SC_Lm5ESE_iEESJ_PSD_iiiiiiiii.num_named_barrier, 0
	.set _ZN2at6native12_GLOBAL__N_128conv_depthwise3d_cuda_kernelIN3c104HalfEfLin1ELin1ELin1ELi1ELi1ELi1EEEvN5torch10headeronly6detail27GenericPackedTensorAccessorINS7_14TensorAccessorINS3_8ArrayRefIlEEKT_Lm4ENS6_16DefaultPtrTraitsEiEENS_6detail16IndexBoundsCheckILm5EiEESD_Lm5ESE_iEENS8_INS9_ISB_SC_Lm4ESE_iEESI_SC_Lm5ESE_iEESJ_PSD_iiiiiiiii.private_seg_size, 0
	.set _ZN2at6native12_GLOBAL__N_128conv_depthwise3d_cuda_kernelIN3c104HalfEfLin1ELin1ELin1ELi1ELi1ELi1EEEvN5torch10headeronly6detail27GenericPackedTensorAccessorINS7_14TensorAccessorINS3_8ArrayRefIlEEKT_Lm4ENS6_16DefaultPtrTraitsEiEENS_6detail16IndexBoundsCheckILm5EiEESD_Lm5ESE_iEENS8_INS9_ISB_SC_Lm4ESE_iEESI_SC_Lm5ESE_iEESJ_PSD_iiiiiiiii.uses_vcc, 1
	.set _ZN2at6native12_GLOBAL__N_128conv_depthwise3d_cuda_kernelIN3c104HalfEfLin1ELin1ELin1ELi1ELi1ELi1EEEvN5torch10headeronly6detail27GenericPackedTensorAccessorINS7_14TensorAccessorINS3_8ArrayRefIlEEKT_Lm4ENS6_16DefaultPtrTraitsEiEENS_6detail16IndexBoundsCheckILm5EiEESD_Lm5ESE_iEENS8_INS9_ISB_SC_Lm4ESE_iEESI_SC_Lm5ESE_iEESJ_PSD_iiiiiiiii.uses_flat_scratch, 0
	.set _ZN2at6native12_GLOBAL__N_128conv_depthwise3d_cuda_kernelIN3c104HalfEfLin1ELin1ELin1ELi1ELi1ELi1EEEvN5torch10headeronly6detail27GenericPackedTensorAccessorINS7_14TensorAccessorINS3_8ArrayRefIlEEKT_Lm4ENS6_16DefaultPtrTraitsEiEENS_6detail16IndexBoundsCheckILm5EiEESD_Lm5ESE_iEENS8_INS9_ISB_SC_Lm4ESE_iEESI_SC_Lm5ESE_iEESJ_PSD_iiiiiiiii.has_dyn_sized_stack, 0
	.set _ZN2at6native12_GLOBAL__N_128conv_depthwise3d_cuda_kernelIN3c104HalfEfLin1ELin1ELin1ELi1ELi1ELi1EEEvN5torch10headeronly6detail27GenericPackedTensorAccessorINS7_14TensorAccessorINS3_8ArrayRefIlEEKT_Lm4ENS6_16DefaultPtrTraitsEiEENS_6detail16IndexBoundsCheckILm5EiEESD_Lm5ESE_iEENS8_INS9_ISB_SC_Lm4ESE_iEESI_SC_Lm5ESE_iEESJ_PSD_iiiiiiiii.has_recursion, 0
	.set _ZN2at6native12_GLOBAL__N_128conv_depthwise3d_cuda_kernelIN3c104HalfEfLin1ELin1ELin1ELi1ELi1ELi1EEEvN5torch10headeronly6detail27GenericPackedTensorAccessorINS7_14TensorAccessorINS3_8ArrayRefIlEEKT_Lm4ENS6_16DefaultPtrTraitsEiEENS_6detail16IndexBoundsCheckILm5EiEESD_Lm5ESE_iEENS8_INS9_ISB_SC_Lm4ESE_iEESI_SC_Lm5ESE_iEESJ_PSD_iiiiiiiii.has_indirect_call, 0
	.section	.AMDGPU.csdata,"",@progbits
; Kernel info:
; codeLenInByte = 1980
; TotalNumSgprs: 68
; NumVgprs: 30
; ScratchSize: 0
; MemoryBound: 0
; FloatMode: 240
; IeeeMode: 1
; LDSByteSize: 0 bytes/workgroup (compile time only)
; SGPRBlocks: 0
; VGPRBlocks: 3
; NumSGPRsForWavesPerEU: 68
; NumVGPRsForWavesPerEU: 30
; Occupancy: 16
; WaveLimiterHint : 0
; COMPUTE_PGM_RSRC2:SCRATCH_EN: 0
; COMPUTE_PGM_RSRC2:USER_SGPR: 6
; COMPUTE_PGM_RSRC2:TRAP_HANDLER: 0
; COMPUTE_PGM_RSRC2:TGID_X_EN: 1
; COMPUTE_PGM_RSRC2:TGID_Y_EN: 0
; COMPUTE_PGM_RSRC2:TGID_Z_EN: 0
; COMPUTE_PGM_RSRC2:TIDIG_COMP_CNT: 0
	.section	.text._ZN2at6native12_GLOBAL__N_128conv_depthwise3d_cuda_kernelIN3c104HalfEfLin1ELin1ELin1ELin1ELin1ELin1EEEvN5torch10headeronly6detail27GenericPackedTensorAccessorINS7_14TensorAccessorINS3_8ArrayRefIlEEKT_Lm4ENS6_16DefaultPtrTraitsEiEENS_6detail16IndexBoundsCheckILm5EiEESD_Lm5ESE_iEENS8_INS9_ISB_SC_Lm4ESE_iEESI_SC_Lm5ESE_iEESJ_PSD_iiiiiiiii,"axG",@progbits,_ZN2at6native12_GLOBAL__N_128conv_depthwise3d_cuda_kernelIN3c104HalfEfLin1ELin1ELin1ELin1ELin1ELin1EEEvN5torch10headeronly6detail27GenericPackedTensorAccessorINS7_14TensorAccessorINS3_8ArrayRefIlEEKT_Lm4ENS6_16DefaultPtrTraitsEiEENS_6detail16IndexBoundsCheckILm5EiEESD_Lm5ESE_iEENS8_INS9_ISB_SC_Lm4ESE_iEESI_SC_Lm5ESE_iEESJ_PSD_iiiiiiiii,comdat
	.globl	_ZN2at6native12_GLOBAL__N_128conv_depthwise3d_cuda_kernelIN3c104HalfEfLin1ELin1ELin1ELin1ELin1ELin1EEEvN5torch10headeronly6detail27GenericPackedTensorAccessorINS7_14TensorAccessorINS3_8ArrayRefIlEEKT_Lm4ENS6_16DefaultPtrTraitsEiEENS_6detail16IndexBoundsCheckILm5EiEESD_Lm5ESE_iEENS8_INS9_ISB_SC_Lm4ESE_iEESI_SC_Lm5ESE_iEESJ_PSD_iiiiiiiii ; -- Begin function _ZN2at6native12_GLOBAL__N_128conv_depthwise3d_cuda_kernelIN3c104HalfEfLin1ELin1ELin1ELin1ELin1ELin1EEEvN5torch10headeronly6detail27GenericPackedTensorAccessorINS7_14TensorAccessorINS3_8ArrayRefIlEEKT_Lm4ENS6_16DefaultPtrTraitsEiEENS_6detail16IndexBoundsCheckILm5EiEESD_Lm5ESE_iEENS8_INS9_ISB_SC_Lm4ESE_iEESI_SC_Lm5ESE_iEESJ_PSD_iiiiiiiii
	.p2align	8
	.type	_ZN2at6native12_GLOBAL__N_128conv_depthwise3d_cuda_kernelIN3c104HalfEfLin1ELin1ELin1ELin1ELin1ELin1EEEvN5torch10headeronly6detail27GenericPackedTensorAccessorINS7_14TensorAccessorINS3_8ArrayRefIlEEKT_Lm4ENS6_16DefaultPtrTraitsEiEENS_6detail16IndexBoundsCheckILm5EiEESD_Lm5ESE_iEENS8_INS9_ISB_SC_Lm4ESE_iEESI_SC_Lm5ESE_iEESJ_PSD_iiiiiiiii,@function
_ZN2at6native12_GLOBAL__N_128conv_depthwise3d_cuda_kernelIN3c104HalfEfLin1ELin1ELin1ELin1ELin1ELin1EEEvN5torch10headeronly6detail27GenericPackedTensorAccessorINS7_14TensorAccessorINS3_8ArrayRefIlEEKT_Lm4ENS6_16DefaultPtrTraitsEiEENS_6detail16IndexBoundsCheckILm5EiEESD_Lm5ESE_iEENS8_INS9_ISB_SC_Lm4ESE_iEESI_SC_Lm5ESE_iEESJ_PSD_iiiiiiiii: ; @_ZN2at6native12_GLOBAL__N_128conv_depthwise3d_cuda_kernelIN3c104HalfEfLin1ELin1ELin1ELin1ELin1ELin1EEEvN5torch10headeronly6detail27GenericPackedTensorAccessorINS7_14TensorAccessorINS3_8ArrayRefIlEEKT_Lm4ENS6_16DefaultPtrTraitsEiEENS_6detail16IndexBoundsCheckILm5EiEESD_Lm5ESE_iEENS8_INS9_ISB_SC_Lm4ESE_iEESI_SC_Lm5ESE_iEESJ_PSD_iiiiiiiii
; %bb.0:
	s_clause 0x3
	s_load_dwordx4 s[16:19], s[4:5], 0xc
	s_load_dword s3, s[4:5], 0xcc
	s_load_dwordx4 s[20:23], s[4:5], 0x38
	s_load_dwordx2 s[34:35], s[4:5], 0x48
	s_waitcnt lgkmcnt(0)
	s_abs_i32 s2, s16
	s_add_u32 s0, s4, 0xc0
	v_cvt_f32_u32_e32 v1, s2
	s_addc_u32 s1, s5, 0
	s_and_b32 s48, s3, 0xffff
	s_mul_i32 s36, s35, s20
	s_ashr_i32 s37, s36, 31
	v_rcp_iflag_f32_e32 v2, v1
	v_mov_b32_e32 v1, 0
	v_mad_u64_u32 v[0:1], null, s48, s6, v[0:1]
	s_mov_b32 s6, exec_lo
	v_mul_f32_e32 v2, 0x4f7ffffe, v2
	v_cvt_u32_f32_e32 v2, v2
	v_readfirstlane_b32 s3, v2
	v_cmpx_gt_i64_e64 s[36:37], v[0:1]
	s_cbranch_execz .LBB8_17
; %bb.1:
	s_sub_i32 s6, 0, s2
	s_ashr_i32 s7, s16, 31
	s_mul_i32 s6, s6, s3
	s_abs_i32 s16, s21
	s_mul_hi_u32 s6, s3, s6
	s_clause 0x1
	s_load_dwordx4 s[24:27], s[4:5], 0x70
	s_load_dwordx2 s[40:41], s[4:5], 0x90
	s_add_i32 s3, s3, s6
	s_load_dwordx8 s[8:15], s[4:5], 0x98
	s_mul_hi_u32 s3, s16, s3
	s_ashr_i32 s20, s21, 31
	s_mul_i32 s6, s3, s2
	s_load_dword s38, s[4:5], 0xb8
	s_sub_i32 s6, s16, s6
	s_xor_b32 s7, s20, s7
	s_waitcnt lgkmcnt(0)
	s_add_i32 s27, s3, 1
	s_sub_i32 s28, s6, s2
	s_cmp_ge_u32 s6, s2
	v_cvt_f32_u32_e32 v5, s16
	s_cselect_b32 s3, s27, s3
	s_cselect_b32 s6, s28, s6
	s_add_i32 s27, s3, 1
	s_cmp_ge_u32 s6, s2
	v_rcp_iflag_f32_e32 v5, v5
	s_cselect_b32 s2, s27, s3
	s_load_dword s0, s[0:1], 0x0
	s_xor_b32 s2, s2, s7
	s_load_dword s27, s[4:5], 0x7c
	s_sub_i32 s49, s2, s7
	s_cmp_gt_i32 s24, 0
	s_mul_i32 s3, s18, s14
	s_cselect_b32 s33, -1, 0
	s_cmp_gt_i32 s25, 0
	s_mul_i32 s6, s25, s15
	s_cselect_b32 s54, -1, 0
	;; [unrolled: 3-line block ×3, first 2 shown]
	s_mul_i32 s7, s26, s38
	s_sub_i32 s3, s3, s6
	s_sub_i32 s2, s2, s7
	s_mul_i32 s52, s3, s19
	s_ashr_i32 s39, s38, 31
	s_ashr_i32 s3, s2, 31
	;; [unrolled: 1-line block ×3, first 2 shown]
	s_cmp_lg_u64 s[40:41], 0
	v_mul_f32_e32 v5, 0x4f7ffffe, v5
	s_cselect_b32 s56, -1, 0
	s_abs_i32 s57, s34
	s_abs_i32 s58, s23
	v_cvt_f32_u32_e32 v2, s57
	s_abs_i32 s60, s22
	v_cvt_f32_u32_e32 v3, s58
	v_cvt_f32_u32_e32 v4, s60
	s_abs_i32 s61, s49
	v_rcp_iflag_f32_e32 v2, v2
	v_cvt_f32_u32_e32 v6, s61
	v_rcp_iflag_f32_e32 v3, v3
	v_rcp_iflag_f32_e32 v4, v4
	s_sub_i32 s1, 0, s57
	v_cvt_u32_f32_e32 v5, v5
	v_rcp_iflag_f32_e32 v6, v6
	s_sub_i32 s6, 0, s58
	s_clause 0x3
	s_load_dwordx2 s[42:43], s[4:5], 0x0
	s_load_dwordx4 s[28:31], s[4:5], 0x1c
	s_load_dword s62, s[4:5], 0x2c
	s_load_dwordx2 s[44:45], s[4:5], 0x30
	v_mul_f32_e32 v2, 0x4f7ffffe, v2
	s_mov_b32 s59, 0
	v_mul_f32_e32 v3, 0x4f7ffffe, v3
	v_mul_f32_e32 v4, 0x4f7ffffe, v4
	s_waitcnt lgkmcnt(0)
	s_mul_i32 s63, s0, s48
	v_cvt_u32_f32_e32 v2, v2
	v_mul_f32_e32 v6, 0x4f7ffffe, v6
	v_cvt_u32_f32_e32 v3, v3
	v_cvt_u32_f32_e32 v4, v4
	s_ashr_i32 s64, s34, 31
	v_mul_lo_u32 v7, s1, v2
	v_cvt_u32_f32_e32 v6, v6
	s_sub_i32 s1, 0, s60
	v_mul_lo_u32 v8, s6, v3
	s_sub_i32 s6, 0, s16
	v_mul_lo_u32 v9, s1, v4
	;; [unrolled: 2-line block ×3, first 2 shown]
	v_mul_lo_u32 v11, s1, v6
	s_clause 0x1
	s_load_dwordx2 s[46:47], s[4:5], 0x60
	s_load_dwordx4 s[4:7], s[4:5], 0x50
	v_mul_hi_u32 v7, v2, v7
	v_mul_hi_u32 v8, v3, v8
	s_ashr_i32 s65, s23, 31
	v_mul_hi_u32 v9, v4, v9
	s_ashr_i32 s66, s22, 31
	v_mul_hi_u32 v13, v5, v10
	v_mul_hi_u32 v14, v6, v11
	s_ashr_i32 s67, s49, 31
	v_add_nc_u32_e32 v10, v2, v7
	v_add_nc_u32_e32 v11, v3, v8
	s_lshl_b64 s[48:49], s[38:39], 1
	v_add_nc_u32_e32 v12, v4, v9
	s_lshl_b64 s[50:51], s[2:3], 1
	v_add_nc_u32_e32 v13, v5, v13
	v_add_nc_u32_e32 v14, v6, v14
	s_lshl_b64 s[52:53], s[52:53], 1
	s_branch .LBB8_3
.LBB8_2:                                ;   in Loop: Header=BB8_3 Depth=1
	v_mul_lo_u32 v3, v18, s35
	s_waitcnt lgkmcnt(0)
	v_mul_lo_u32 v5, s4, v2
	v_mul_lo_u32 v2, s5, v17
	;; [unrolled: 1-line block ×3, first 2 shown]
	v_add_co_u32 v0, vcc_lo, v0, s63
	v_add_co_ci_u32_e64 v1, null, 0, v1, vcc_lo
	v_ashrrev_i32_e32 v4, 31, v3
	v_ashrrev_i32_e32 v6, 31, v5
	v_mul_lo_u32 v15, s7, v15
	v_ashrrev_i32_e32 v8, 31, v7
	v_cvt_f16_f32_e32 v9, v19
	v_lshlrev_b64 v[17:18], 1, v[3:4]
	v_ashrrev_i32_e32 v3, 31, v2
	v_lshlrev_b64 v[4:5], 1, v[5:6]
	v_ashrrev_i32_e32 v16, 31, v15
	v_add_co_u32 v6, vcc_lo, s44, v17
	v_add_co_ci_u32_e64 v17, null, s45, v18, vcc_lo
	v_lshlrev_b64 v[2:3], 1, v[2:3]
	v_add_co_u32 v6, vcc_lo, v6, v4
	v_add_co_ci_u32_e64 v17, null, v17, v5, vcc_lo
	v_lshlrev_b64 v[4:5], 1, v[7:8]
	;; [unrolled: 3-line block ×3, first 2 shown]
	v_add_co_u32 v4, vcc_lo, v6, v4
	v_add_co_ci_u32_e64 v5, null, v7, v5, vcc_lo
	v_cmp_le_i64_e32 vcc_lo, s[36:37], v[0:1]
	v_add_co_u32 v2, s0, v4, v2
	v_add_co_ci_u32_e64 v3, null, v5, v3, s0
	s_or_b32 s59, vcc_lo, s59
	global_store_short v[2:3], v9, off
	s_andn2_b32 exec_lo, exec_lo, s59
	s_cbranch_execz .LBB8_17
.LBB8_3:                                ; =>This Loop Header: Depth=1
                                        ;     Child Loop BB8_6 Depth 2
                                        ;       Child Loop BB8_9 Depth 3
                                        ;         Child Loop BB8_12 Depth 4
	v_sub_nc_u32_e32 v2, 0, v0
	v_max_i32_e32 v2, v0, v2
	v_mul_hi_u32 v3, v2, v10
	v_mul_lo_u32 v4, v3, s57
	v_sub_nc_u32_e32 v2, v2, v4
	v_add_nc_u32_e32 v4, 1, v3
	v_subrev_nc_u32_e32 v5, s57, v2
	v_cmp_le_u32_e32 vcc_lo, s57, v2
	v_cndmask_b32_e32 v3, v3, v4, vcc_lo
	v_cndmask_b32_e32 v2, v2, v5, vcc_lo
	v_ashrrev_i32_e32 v4, 31, v0
	v_add_nc_u32_e32 v5, 1, v3
	v_cmp_le_u32_e32 vcc_lo, s57, v2
	v_xor_b32_e32 v4, s64, v4
	v_cndmask_b32_e32 v2, v3, v5, vcc_lo
	v_xor_b32_e32 v2, v2, v4
	v_sub_nc_u32_e32 v3, v2, v4
	v_sub_nc_u32_e32 v2, 0, v3
	v_max_i32_e32 v2, v3, v2
	v_mul_hi_u32 v4, v2, v11
	v_mul_lo_u32 v5, v4, s58
	v_sub_nc_u32_e32 v2, v2, v5
	v_add_nc_u32_e32 v5, 1, v4
	v_subrev_nc_u32_e32 v6, s58, v2
	v_cmp_le_u32_e32 vcc_lo, s58, v2
	v_cndmask_b32_e32 v4, v4, v5, vcc_lo
	v_cndmask_b32_e32 v2, v2, v6, vcc_lo
	v_ashrrev_i32_e32 v5, 31, v3
	v_add_nc_u32_e32 v6, 1, v4
	v_cmp_le_u32_e32 vcc_lo, s58, v2
	v_xor_b32_e32 v5, s65, v5
	v_cndmask_b32_e32 v2, v4, v6, vcc_lo
	v_xor_b32_e32 v2, v2, v5
	v_sub_nc_u32_e32 v4, v2, v5
	;; [unrolled: 17-line block ×3, first 2 shown]
	v_sub_nc_u32_e32 v5, 0, v2
	v_max_i32_e32 v5, v2, v5
	v_mul_hi_u32 v6, v5, v13
	v_mul_lo_u32 v7, v6, s16
	v_sub_nc_u32_e32 v5, v5, v7
	v_add_nc_u32_e32 v7, 1, v6
	v_subrev_nc_u32_e32 v8, s16, v5
	v_cmp_le_u32_e32 vcc_lo, s16, v5
	v_cndmask_b32_e32 v6, v6, v7, vcc_lo
	v_cndmask_b32_e32 v5, v5, v8, vcc_lo
	v_ashrrev_i32_e32 v7, 31, v2
	v_add_nc_u32_e32 v8, 1, v6
	v_cmp_le_u32_e32 vcc_lo, s16, v5
	v_xor_b32_e32 v7, s20, v7
	v_cndmask_b32_e32 v5, v6, v8, vcc_lo
	v_mul_lo_u32 v6, v3, s34
	v_mul_lo_u32 v8, v2, s22
	s_andn2_b32 vcc_lo, exec_lo, s33
	v_xor_b32_e32 v5, v5, v7
	v_sub_nc_u32_e32 v15, v0, v6
	v_sub_nc_u32_e32 v18, v5, v7
	v_mul_lo_u32 v7, v4, s23
	v_sub_nc_u32_e32 v17, v4, v8
	v_mul_lo_u32 v5, v18, s21
	v_sub_nc_u32_e32 v16, v3, v7
	v_sub_nc_u32_e32 v2, v2, v5
	v_ashrrev_i32_e32 v3, 31, v2
	s_cbranch_vccnz .LBB8_14
; %bb.4:                                ;   in Loop: Header=BB8_3 Depth=1
	v_sub_nc_u32_e32 v4, 0, v2
	v_mul_lo_u32 v9, v16, s9
	v_mul_lo_u32 v19, v15, s10
	;; [unrolled: 1-line block ×3, first 2 shown]
	s_mov_b32 s3, 0
	v_max_i32_e32 v4, v2, v4
	v_subrev_nc_u32_e32 v20, s13, v19
	v_mul_hi_u32 v5, v4, v14
	v_mul_lo_u32 v27, s62, v20
	v_mul_lo_u32 v6, v5, s61
	v_ashrrev_i32_e32 v28, 31, v27
	v_sub_nc_u32_e32 v4, v4, v6
	v_add_nc_u32_e32 v6, 1, v5
	v_subrev_nc_u32_e32 v7, s61, v4
	v_cmp_le_u32_e32 vcc_lo, s61, v4
	v_cndmask_b32_e32 v5, v5, v6, vcc_lo
	v_cndmask_b32_e32 v4, v4, v7, vcc_lo
	v_xor_b32_e32 v7, s67, v3
	v_add_nc_u32_e32 v6, 1, v5
	v_cmp_le_u32_e32 vcc_lo, s61, v4
	v_cndmask_b32_e32 v4, v5, v6, vcc_lo
	v_mul_lo_u32 v5, v17, s8
	v_mul_lo_u32 v6, s28, v18
	v_xor_b32_e32 v4, v4, v7
	v_sub_nc_u32_e32 v7, v4, v7
	v_subrev_nc_u32_e32 v4, s11, v5
	v_subrev_nc_u32_e32 v5, s12, v9
	v_ashrrev_i32_e32 v9, 31, v8
	v_mul_lo_u32 v21, s29, v7
	v_ashrrev_i32_e32 v7, 31, v6
	v_mul_lo_u32 v23, s30, v4
	v_mul_lo_u32 v25, s31, v5
	v_lshlrev_b64 v[8:9], 1, v[8:9]
	v_lshlrev_b64 v[6:7], 1, v[6:7]
	v_ashrrev_i32_e32 v22, 31, v21
	v_ashrrev_i32_e32 v24, 31, v23
	;; [unrolled: 1-line block ×3, first 2 shown]
	v_add_co_u32 v19, vcc_lo, s42, v6
	v_lshlrev_b64 v[21:22], 1, v[21:22]
	v_add_co_ci_u32_e64 v29, null, s43, v7, vcc_lo
	v_lshlrev_b64 v[6:7], 1, v[23:24]
	v_add_co_u32 v19, vcc_lo, v19, v21
	v_add_co_ci_u32_e64 v23, null, v29, v22, vcc_lo
	v_lshlrev_b64 v[21:22], 1, v[25:26]
	v_add_co_u32 v6, vcc_lo, v19, v6
	;; [unrolled: 3-line block ×3, first 2 shown]
	v_add_co_ci_u32_e64 v21, null, v7, v22, vcc_lo
	s_waitcnt lgkmcnt(0)
	v_add_co_u32 v6, vcc_lo, s46, v8
	v_add_co_ci_u32_e64 v7, null, s47, v9, vcc_lo
	v_add_co_u32 v8, vcc_lo, v19, v23
	v_add_co_ci_u32_e64 v9, null, v21, v24, vcc_lo
	v_mov_b32_e32 v19, 0
	s_branch .LBB8_6
.LBB8_5:                                ;   in Loop: Header=BB8_6 Depth=2
	s_inst_prefetch 0x2
	v_add_co_u32 v8, vcc_lo, v8, s52
	v_add_co_ci_u32_e64 v9, null, s53, v9, vcc_lo
	s_add_i32 s3, s3, 1
	s_cmp_eq_u32 s3, s24
	s_cbranch_scc1 .LBB8_15
.LBB8_6:                                ;   Parent Loop BB8_3 Depth=1
                                        ; =>  This Loop Header: Depth=2
                                        ;       Child Loop BB8_9 Depth 3
                                        ;         Child Loop BB8_12 Depth 4
	s_andn2_b32 vcc_lo, exec_lo, s54
	s_cbranch_vccnz .LBB8_5
; %bb.7:                                ;   in Loop: Header=BB8_6 Depth=2
	v_mad_u64_u32 v[21:22], null, s3, s14, v[4:5]
	s_mov_b32 s39, 0
	v_cmp_lt_i32_e64 s0, -1, v21
	v_cmp_gt_i32_e64 s1, s17, v21
	s_inst_prefetch 0x1
	s_branch .LBB8_9
	.p2align	6
.LBB8_8:                                ;   in Loop: Header=BB8_9 Depth=3
	v_add_co_u32 v8, vcc_lo, v8, s50
	v_add_co_ci_u32_e64 v9, null, s51, v9, vcc_lo
	s_add_i32 s39, s39, 1
	s_cmp_eq_u32 s39, s25
	s_cbranch_scc1 .LBB8_5
.LBB8_9:                                ;   Parent Loop BB8_3 Depth=1
                                        ;     Parent Loop BB8_6 Depth=2
                                        ; =>    This Loop Header: Depth=3
                                        ;         Child Loop BB8_12 Depth 4
	s_andn2_b32 vcc_lo, exec_lo, s55
	s_cbranch_vccnz .LBB8_8
; %bb.10:                               ;   in Loop: Header=BB8_9 Depth=3
	v_mad_u64_u32 v[22:23], null, s39, s15, v[5:6]
	v_mov_b32_e32 v21, v20
	s_mov_b32 s69, s26
	v_cmp_lt_i32_e64 s2, -1, v22
	v_cmp_gt_i32_e32 vcc_lo, s18, v22
	s_and_b32 s68, s0, s2
	s_branch .LBB8_12
	.p2align	6
.LBB8_11:                               ;   in Loop: Header=BB8_12 Depth=4
	s_or_b32 exec_lo, exec_lo, s2
	v_add_co_u32 v6, s2, v6, 2
	v_add_co_ci_u32_e64 v7, null, 0, v7, s2
	v_add_co_u32 v8, s2, v8, s48
	v_add_nc_u32_e32 v21, s38, v21
	v_add_co_ci_u32_e64 v9, null, s49, v9, s2
	s_add_i32 s69, s69, -1
	s_cmp_eq_u32 s69, 0
	s_cbranch_scc1 .LBB8_8
.LBB8_12:                               ;   Parent Loop BB8_3 Depth=1
                                        ;     Parent Loop BB8_6 Depth=2
                                        ;       Parent Loop BB8_9 Depth=3
                                        ; =>      This Inner Loop Header: Depth=4
	v_cmp_lt_i32_e64 s2, -1, v21
	s_and_b32 s70, s68, s2
	v_cmp_gt_i32_e64 s2, s19, v21
	s_and_b32 s70, s70, s1
	s_and_b32 s70, s70, vcc_lo
	s_and_b32 s70, s70, s2
	s_and_saveexec_b32 s2, s70
	s_cbranch_execz .LBB8_11
; %bb.13:                               ;   in Loop: Header=BB8_12 Depth=4
	global_load_ushort v22, v[6:7], off
	global_load_ushort v23, v[8:9], off
	s_waitcnt vmcnt(0)
	v_fma_mix_f32 v19, v22, v23, v19 op_sel_hi:[1,1,0]
	s_branch .LBB8_11
.LBB8_14:                               ;   in Loop: Header=BB8_3 Depth=1
	v_mov_b32_e32 v19, 0
.LBB8_15:                               ;   in Loop: Header=BB8_3 Depth=1
	s_and_b32 vcc_lo, exec_lo, s56
	s_cbranch_vccz .LBB8_2
; %bb.16:                               ;   in Loop: Header=BB8_3 Depth=1
	v_lshlrev_b64 v[3:4], 1, v[2:3]
	v_add_co_u32 v3, vcc_lo, s40, v3
	v_add_co_ci_u32_e64 v4, null, s41, v4, vcc_lo
	global_load_ushort v3, v[3:4], off
	s_waitcnt vmcnt(0)
	v_cvt_f32_f16_e32 v3, v3
	v_add_f32_e32 v19, v19, v3
	s_branch .LBB8_2
.LBB8_17:
	s_endpgm
	.section	.rodata,"a",@progbits
	.p2align	6, 0x0
	.amdhsa_kernel _ZN2at6native12_GLOBAL__N_128conv_depthwise3d_cuda_kernelIN3c104HalfEfLin1ELin1ELin1ELin1ELin1ELin1EEEvN5torch10headeronly6detail27GenericPackedTensorAccessorINS7_14TensorAccessorINS3_8ArrayRefIlEEKT_Lm4ENS6_16DefaultPtrTraitsEiEENS_6detail16IndexBoundsCheckILm5EiEESD_Lm5ESE_iEENS8_INS9_ISB_SC_Lm4ESE_iEESI_SC_Lm5ESE_iEESJ_PSD_iiiiiiiii
		.amdhsa_group_segment_fixed_size 0
		.amdhsa_private_segment_fixed_size 0
		.amdhsa_kernarg_size 448
		.amdhsa_user_sgpr_count 6
		.amdhsa_user_sgpr_private_segment_buffer 1
		.amdhsa_user_sgpr_dispatch_ptr 0
		.amdhsa_user_sgpr_queue_ptr 0
		.amdhsa_user_sgpr_kernarg_segment_ptr 1
		.amdhsa_user_sgpr_dispatch_id 0
		.amdhsa_user_sgpr_flat_scratch_init 0
		.amdhsa_user_sgpr_private_segment_size 0
		.amdhsa_wavefront_size32 1
		.amdhsa_uses_dynamic_stack 0
		.amdhsa_system_sgpr_private_segment_wavefront_offset 0
		.amdhsa_system_sgpr_workgroup_id_x 1
		.amdhsa_system_sgpr_workgroup_id_y 0
		.amdhsa_system_sgpr_workgroup_id_z 0
		.amdhsa_system_sgpr_workgroup_info 0
		.amdhsa_system_vgpr_workitem_id 0
		.amdhsa_next_free_vgpr 30
		.amdhsa_next_free_sgpr 71
		.amdhsa_reserve_vcc 1
		.amdhsa_reserve_flat_scratch 0
		.amdhsa_float_round_mode_32 0
		.amdhsa_float_round_mode_16_64 0
		.amdhsa_float_denorm_mode_32 3
		.amdhsa_float_denorm_mode_16_64 3
		.amdhsa_dx10_clamp 1
		.amdhsa_ieee_mode 1
		.amdhsa_fp16_overflow 0
		.amdhsa_workgroup_processor_mode 1
		.amdhsa_memory_ordered 1
		.amdhsa_forward_progress 1
		.amdhsa_shared_vgpr_count 0
		.amdhsa_exception_fp_ieee_invalid_op 0
		.amdhsa_exception_fp_denorm_src 0
		.amdhsa_exception_fp_ieee_div_zero 0
		.amdhsa_exception_fp_ieee_overflow 0
		.amdhsa_exception_fp_ieee_underflow 0
		.amdhsa_exception_fp_ieee_inexact 0
		.amdhsa_exception_int_div_zero 0
	.end_amdhsa_kernel
	.section	.text._ZN2at6native12_GLOBAL__N_128conv_depthwise3d_cuda_kernelIN3c104HalfEfLin1ELin1ELin1ELin1ELin1ELin1EEEvN5torch10headeronly6detail27GenericPackedTensorAccessorINS7_14TensorAccessorINS3_8ArrayRefIlEEKT_Lm4ENS6_16DefaultPtrTraitsEiEENS_6detail16IndexBoundsCheckILm5EiEESD_Lm5ESE_iEENS8_INS9_ISB_SC_Lm4ESE_iEESI_SC_Lm5ESE_iEESJ_PSD_iiiiiiiii,"axG",@progbits,_ZN2at6native12_GLOBAL__N_128conv_depthwise3d_cuda_kernelIN3c104HalfEfLin1ELin1ELin1ELin1ELin1ELin1EEEvN5torch10headeronly6detail27GenericPackedTensorAccessorINS7_14TensorAccessorINS3_8ArrayRefIlEEKT_Lm4ENS6_16DefaultPtrTraitsEiEENS_6detail16IndexBoundsCheckILm5EiEESD_Lm5ESE_iEENS8_INS9_ISB_SC_Lm4ESE_iEESI_SC_Lm5ESE_iEESJ_PSD_iiiiiiiii,comdat
.Lfunc_end8:
	.size	_ZN2at6native12_GLOBAL__N_128conv_depthwise3d_cuda_kernelIN3c104HalfEfLin1ELin1ELin1ELin1ELin1ELin1EEEvN5torch10headeronly6detail27GenericPackedTensorAccessorINS7_14TensorAccessorINS3_8ArrayRefIlEEKT_Lm4ENS6_16DefaultPtrTraitsEiEENS_6detail16IndexBoundsCheckILm5EiEESD_Lm5ESE_iEENS8_INS9_ISB_SC_Lm4ESE_iEESI_SC_Lm5ESE_iEESJ_PSD_iiiiiiiii, .Lfunc_end8-_ZN2at6native12_GLOBAL__N_128conv_depthwise3d_cuda_kernelIN3c104HalfEfLin1ELin1ELin1ELin1ELin1ELin1EEEvN5torch10headeronly6detail27GenericPackedTensorAccessorINS7_14TensorAccessorINS3_8ArrayRefIlEEKT_Lm4ENS6_16DefaultPtrTraitsEiEENS_6detail16IndexBoundsCheckILm5EiEESD_Lm5ESE_iEENS8_INS9_ISB_SC_Lm4ESE_iEESI_SC_Lm5ESE_iEESJ_PSD_iiiiiiiii
                                        ; -- End function
	.set _ZN2at6native12_GLOBAL__N_128conv_depthwise3d_cuda_kernelIN3c104HalfEfLin1ELin1ELin1ELin1ELin1ELin1EEEvN5torch10headeronly6detail27GenericPackedTensorAccessorINS7_14TensorAccessorINS3_8ArrayRefIlEEKT_Lm4ENS6_16DefaultPtrTraitsEiEENS_6detail16IndexBoundsCheckILm5EiEESD_Lm5ESE_iEENS8_INS9_ISB_SC_Lm4ESE_iEESI_SC_Lm5ESE_iEESJ_PSD_iiiiiiiii.num_vgpr, 30
	.set _ZN2at6native12_GLOBAL__N_128conv_depthwise3d_cuda_kernelIN3c104HalfEfLin1ELin1ELin1ELin1ELin1ELin1EEEvN5torch10headeronly6detail27GenericPackedTensorAccessorINS7_14TensorAccessorINS3_8ArrayRefIlEEKT_Lm4ENS6_16DefaultPtrTraitsEiEENS_6detail16IndexBoundsCheckILm5EiEESD_Lm5ESE_iEENS8_INS9_ISB_SC_Lm4ESE_iEESI_SC_Lm5ESE_iEESJ_PSD_iiiiiiiii.num_agpr, 0
	.set _ZN2at6native12_GLOBAL__N_128conv_depthwise3d_cuda_kernelIN3c104HalfEfLin1ELin1ELin1ELin1ELin1ELin1EEEvN5torch10headeronly6detail27GenericPackedTensorAccessorINS7_14TensorAccessorINS3_8ArrayRefIlEEKT_Lm4ENS6_16DefaultPtrTraitsEiEENS_6detail16IndexBoundsCheckILm5EiEESD_Lm5ESE_iEENS8_INS9_ISB_SC_Lm4ESE_iEESI_SC_Lm5ESE_iEESJ_PSD_iiiiiiiii.numbered_sgpr, 71
	.set _ZN2at6native12_GLOBAL__N_128conv_depthwise3d_cuda_kernelIN3c104HalfEfLin1ELin1ELin1ELin1ELin1ELin1EEEvN5torch10headeronly6detail27GenericPackedTensorAccessorINS7_14TensorAccessorINS3_8ArrayRefIlEEKT_Lm4ENS6_16DefaultPtrTraitsEiEENS_6detail16IndexBoundsCheckILm5EiEESD_Lm5ESE_iEENS8_INS9_ISB_SC_Lm4ESE_iEESI_SC_Lm5ESE_iEESJ_PSD_iiiiiiiii.num_named_barrier, 0
	.set _ZN2at6native12_GLOBAL__N_128conv_depthwise3d_cuda_kernelIN3c104HalfEfLin1ELin1ELin1ELin1ELin1ELin1EEEvN5torch10headeronly6detail27GenericPackedTensorAccessorINS7_14TensorAccessorINS3_8ArrayRefIlEEKT_Lm4ENS6_16DefaultPtrTraitsEiEENS_6detail16IndexBoundsCheckILm5EiEESD_Lm5ESE_iEENS8_INS9_ISB_SC_Lm4ESE_iEESI_SC_Lm5ESE_iEESJ_PSD_iiiiiiiii.private_seg_size, 0
	.set _ZN2at6native12_GLOBAL__N_128conv_depthwise3d_cuda_kernelIN3c104HalfEfLin1ELin1ELin1ELin1ELin1ELin1EEEvN5torch10headeronly6detail27GenericPackedTensorAccessorINS7_14TensorAccessorINS3_8ArrayRefIlEEKT_Lm4ENS6_16DefaultPtrTraitsEiEENS_6detail16IndexBoundsCheckILm5EiEESD_Lm5ESE_iEENS8_INS9_ISB_SC_Lm4ESE_iEESI_SC_Lm5ESE_iEESJ_PSD_iiiiiiiii.uses_vcc, 1
	.set _ZN2at6native12_GLOBAL__N_128conv_depthwise3d_cuda_kernelIN3c104HalfEfLin1ELin1ELin1ELin1ELin1ELin1EEEvN5torch10headeronly6detail27GenericPackedTensorAccessorINS7_14TensorAccessorINS3_8ArrayRefIlEEKT_Lm4ENS6_16DefaultPtrTraitsEiEENS_6detail16IndexBoundsCheckILm5EiEESD_Lm5ESE_iEENS8_INS9_ISB_SC_Lm4ESE_iEESI_SC_Lm5ESE_iEESJ_PSD_iiiiiiiii.uses_flat_scratch, 0
	.set _ZN2at6native12_GLOBAL__N_128conv_depthwise3d_cuda_kernelIN3c104HalfEfLin1ELin1ELin1ELin1ELin1ELin1EEEvN5torch10headeronly6detail27GenericPackedTensorAccessorINS7_14TensorAccessorINS3_8ArrayRefIlEEKT_Lm4ENS6_16DefaultPtrTraitsEiEENS_6detail16IndexBoundsCheckILm5EiEESD_Lm5ESE_iEENS8_INS9_ISB_SC_Lm4ESE_iEESI_SC_Lm5ESE_iEESJ_PSD_iiiiiiiii.has_dyn_sized_stack, 0
	.set _ZN2at6native12_GLOBAL__N_128conv_depthwise3d_cuda_kernelIN3c104HalfEfLin1ELin1ELin1ELin1ELin1ELin1EEEvN5torch10headeronly6detail27GenericPackedTensorAccessorINS7_14TensorAccessorINS3_8ArrayRefIlEEKT_Lm4ENS6_16DefaultPtrTraitsEiEENS_6detail16IndexBoundsCheckILm5EiEESD_Lm5ESE_iEENS8_INS9_ISB_SC_Lm4ESE_iEESI_SC_Lm5ESE_iEESJ_PSD_iiiiiiiii.has_recursion, 0
	.set _ZN2at6native12_GLOBAL__N_128conv_depthwise3d_cuda_kernelIN3c104HalfEfLin1ELin1ELin1ELin1ELin1ELin1EEEvN5torch10headeronly6detail27GenericPackedTensorAccessorINS7_14TensorAccessorINS3_8ArrayRefIlEEKT_Lm4ENS6_16DefaultPtrTraitsEiEENS_6detail16IndexBoundsCheckILm5EiEESD_Lm5ESE_iEENS8_INS9_ISB_SC_Lm4ESE_iEESI_SC_Lm5ESE_iEESJ_PSD_iiiiiiiii.has_indirect_call, 0
	.section	.AMDGPU.csdata,"",@progbits
; Kernel info:
; codeLenInByte = 2044
; TotalNumSgprs: 73
; NumVgprs: 30
; ScratchSize: 0
; MemoryBound: 0
; FloatMode: 240
; IeeeMode: 1
; LDSByteSize: 0 bytes/workgroup (compile time only)
; SGPRBlocks: 0
; VGPRBlocks: 3
; NumSGPRsForWavesPerEU: 73
; NumVGPRsForWavesPerEU: 30
; Occupancy: 16
; WaveLimiterHint : 0
; COMPUTE_PGM_RSRC2:SCRATCH_EN: 0
; COMPUTE_PGM_RSRC2:USER_SGPR: 6
; COMPUTE_PGM_RSRC2:TRAP_HANDLER: 0
; COMPUTE_PGM_RSRC2:TGID_X_EN: 1
; COMPUTE_PGM_RSRC2:TGID_Y_EN: 0
; COMPUTE_PGM_RSRC2:TGID_Z_EN: 0
; COMPUTE_PGM_RSRC2:TIDIG_COMP_CNT: 0
	.section	.text._ZN2at6native12_GLOBAL__N_128conv_depthwise3d_cuda_kernelIN3c108BFloat16EfLi3ELi3ELi3ELi1ELi1ELi1EEEvN5torch10headeronly6detail27GenericPackedTensorAccessorINS7_14TensorAccessorINS3_8ArrayRefIlEEKT_Lm4ENS6_16DefaultPtrTraitsEiEENS_6detail16IndexBoundsCheckILm5EiEESD_Lm5ESE_iEENS8_INS9_ISB_SC_Lm4ESE_iEESI_SC_Lm5ESE_iEESJ_PSD_iiiiiiiii,"axG",@progbits,_ZN2at6native12_GLOBAL__N_128conv_depthwise3d_cuda_kernelIN3c108BFloat16EfLi3ELi3ELi3ELi1ELi1ELi1EEEvN5torch10headeronly6detail27GenericPackedTensorAccessorINS7_14TensorAccessorINS3_8ArrayRefIlEEKT_Lm4ENS6_16DefaultPtrTraitsEiEENS_6detail16IndexBoundsCheckILm5EiEESD_Lm5ESE_iEENS8_INS9_ISB_SC_Lm4ESE_iEESI_SC_Lm5ESE_iEESJ_PSD_iiiiiiiii,comdat
	.globl	_ZN2at6native12_GLOBAL__N_128conv_depthwise3d_cuda_kernelIN3c108BFloat16EfLi3ELi3ELi3ELi1ELi1ELi1EEEvN5torch10headeronly6detail27GenericPackedTensorAccessorINS7_14TensorAccessorINS3_8ArrayRefIlEEKT_Lm4ENS6_16DefaultPtrTraitsEiEENS_6detail16IndexBoundsCheckILm5EiEESD_Lm5ESE_iEENS8_INS9_ISB_SC_Lm4ESE_iEESI_SC_Lm5ESE_iEESJ_PSD_iiiiiiiii ; -- Begin function _ZN2at6native12_GLOBAL__N_128conv_depthwise3d_cuda_kernelIN3c108BFloat16EfLi3ELi3ELi3ELi1ELi1ELi1EEEvN5torch10headeronly6detail27GenericPackedTensorAccessorINS7_14TensorAccessorINS3_8ArrayRefIlEEKT_Lm4ENS6_16DefaultPtrTraitsEiEENS_6detail16IndexBoundsCheckILm5EiEESD_Lm5ESE_iEENS8_INS9_ISB_SC_Lm4ESE_iEESI_SC_Lm5ESE_iEESJ_PSD_iiiiiiiii
	.p2align	8
	.type	_ZN2at6native12_GLOBAL__N_128conv_depthwise3d_cuda_kernelIN3c108BFloat16EfLi3ELi3ELi3ELi1ELi1ELi1EEEvN5torch10headeronly6detail27GenericPackedTensorAccessorINS7_14TensorAccessorINS3_8ArrayRefIlEEKT_Lm4ENS6_16DefaultPtrTraitsEiEENS_6detail16IndexBoundsCheckILm5EiEESD_Lm5ESE_iEENS8_INS9_ISB_SC_Lm4ESE_iEESI_SC_Lm5ESE_iEESJ_PSD_iiiiiiiii,@function
_ZN2at6native12_GLOBAL__N_128conv_depthwise3d_cuda_kernelIN3c108BFloat16EfLi3ELi3ELi3ELi1ELi1ELi1EEEvN5torch10headeronly6detail27GenericPackedTensorAccessorINS7_14TensorAccessorINS3_8ArrayRefIlEEKT_Lm4ENS6_16DefaultPtrTraitsEiEENS_6detail16IndexBoundsCheckILm5EiEESD_Lm5ESE_iEENS8_INS9_ISB_SC_Lm4ESE_iEESI_SC_Lm5ESE_iEESJ_PSD_iiiiiiiii: ; @_ZN2at6native12_GLOBAL__N_128conv_depthwise3d_cuda_kernelIN3c108BFloat16EfLi3ELi3ELi3ELi1ELi1ELi1EEEvN5torch10headeronly6detail27GenericPackedTensorAccessorINS7_14TensorAccessorINS3_8ArrayRefIlEEKT_Lm4ENS6_16DefaultPtrTraitsEiEENS_6detail16IndexBoundsCheckILm5EiEESD_Lm5ESE_iEENS8_INS9_ISB_SC_Lm4ESE_iEESI_SC_Lm5ESE_iEESJ_PSD_iiiiiiiii
; %bb.0:
	s_clause 0x3
	s_load_dwordx4 s[16:19], s[4:5], 0xc
	s_load_dwordx2 s[14:15], s[4:5], 0x48
	s_load_dword s1, s[4:5], 0xcc
	s_load_dwordx4 s[20:23], s[4:5], 0x38
	v_mov_b32_e32 v7, 0
	s_waitcnt lgkmcnt(0)
	s_abs_i32 s0, s16
	s_add_u32 s2, s4, 0xc0
	v_cvt_f32_u32_e32 v1, s0
	s_addc_u32 s3, s5, 0
	s_and_b32 s8, s1, 0xffff
	s_mul_i32 s34, s15, s20
	s_mul_i32 s33, s8, s6
	v_rcp_iflag_f32_e32 v1, v1
	s_mul_hi_u32 s20, s8, s6
	s_ashr_i32 s35, s34, 31
	s_mov_b32 s6, exec_lo
	v_mul_f32_e32 v3, 0x4f7ffffe, v1
	v_add_co_u32 v1, s1, s33, v0
	v_add_co_ci_u32_e64 v2, null, s20, 0, s1
	v_cvt_u32_f32_e32 v3, v3
	v_readfirstlane_b32 s1, v3
	v_cmpx_gt_i64_e64 s[34:35], v[1:2]
	s_cbranch_execz .LBB9_59
; %bb.1:
	s_sub_i32 s6, 0, s0
	s_abs_i32 s55, s21
	s_mul_i32 s6, s6, s1
	s_load_dwordx2 s[40:41], s[4:5], 0x90
	s_mul_hi_u32 s6, s1, s6
	s_ashr_i32 s54, s21, 31
	s_add_i32 s1, s1, s6
	s_ashr_i32 s6, s16, 31
	s_mul_hi_u32 s1, s55, s1
	s_xor_b32 s9, s54, s6
	s_mul_i32 s7, s1, s0
	s_load_dword s16, s[4:5], 0x7c
	s_sub_i32 s6, s55, s7
	s_add_i32 s7, s1, 1
	s_sub_i32 s10, s6, s0
	s_cmp_ge_u32 s6, s0
	v_cvt_f32_u32_e32 v4, s55
	s_cselect_b32 s1, s7, s1
	s_cselect_b32 s6, s10, s6
	s_add_i32 s7, s1, 1
	s_cmp_ge_u32 s6, s0
	v_rcp_iflag_f32_e32 v4, v4
	s_cselect_b32 s0, s7, s1
	s_add_i32 s6, s18, -3
	s_xor_b32 s0, s0, s9
	s_mul_i32 s6, s19, s6
	s_ashr_i32 s1, s19, 31
	s_sub_i32 s9, s0, s9
	s_ashr_i32 s7, s6, 31
	s_waitcnt lgkmcnt(0)
	s_cmp_lg_u64 s[40:41], 0
	s_clause 0x1
	s_load_dwordx4 s[24:27], s[4:5], 0x98
	s_load_dwordx2 s[42:43], s[4:5], 0xa8
	s_cselect_b32 s56, -1, 0
	s_abs_i32 s57, s14
	s_abs_i32 s58, s23
	v_cvt_f32_u32_e32 v1, s57
	v_cvt_f32_u32_e32 v2, s58
	s_abs_i32 s60, s22
	s_abs_i32 s61, s9
	v_cvt_f32_u32_e32 v3, s60
	v_rcp_iflag_f32_e32 v1, v1
	v_cvt_f32_u32_e32 v5, s61
	v_rcp_iflag_f32_e32 v2, v2
	v_mul_f32_e32 v4, 0x4f7ffffe, v4
	v_rcp_iflag_f32_e32 v3, v3
	s_sub_i32 s0, 0, s57
	v_rcp_iflag_f32_e32 v5, v5
	s_load_dword s2, s[2:3], 0x0
	v_cvt_u32_f32_e32 v4, v4
	s_sub_i32 s3, 0, s61
	v_mul_f32_e32 v1, 0x4f7ffffe, v1
	s_clause 0x1
	s_load_dwordx2 s[44:45], s[4:5], 0x0
	s_load_dwordx4 s[28:31], s[4:5], 0x1c
	v_mul_f32_e32 v2, 0x4f7ffffe, v2
	s_clause 0x1
	s_load_dword s62, s[4:5], 0x2c
	s_load_dwordx2 s[46:47], s[4:5], 0x30
	v_mul_f32_e32 v3, 0x4f7ffffe, v3
	v_cvt_u32_f32_e32 v1, v1
	v_mul_f32_e32 v5, 0x4f7ffffe, v5
	v_cvt_u32_f32_e32 v2, v2
	s_clause 0x1
	s_load_dwordx2 s[48:49], s[4:5], 0x60
	s_load_dwordx4 s[36:39], s[4:5], 0x50
	v_cvt_u32_f32_e32 v3, v3
	v_mul_lo_u32 v6, s0, v1
	s_sub_i32 s0, 0, s58
	v_cvt_u32_f32_e32 v5, v5
	v_mul_lo_u32 v8, s0, v2
	s_sub_i32 s0, 0, s60
	s_mov_b32 s59, 0
	v_mul_lo_u32 v9, s0, v3
	s_sub_i32 s0, 0, s55
	v_mul_lo_u32 v11, s3, v5
	v_mul_lo_u32 v10, s0, v4
	v_mul_hi_u32 v6, v1, v6
	v_mul_hi_u32 v12, v2, v8
	s_mov_b32 s0, s19
	s_waitcnt lgkmcnt(0)
	s_mul_i32 s63, s2, s8
	v_mul_hi_u32 v13, v3, v9
	s_ashr_i32 s64, s14, 31
	v_mul_hi_u32 v15, v5, v11
	v_mul_hi_u32 v14, v4, v10
	v_add_nc_u32_e32 v8, v1, v6
	v_add_nc_u32_e32 v9, v2, v12
	s_ashr_i32 s65, s23, 31
	s_ashr_i32 s66, s22, 31
	v_add_nc_u32_e32 v10, v3, v13
	v_mov_b32_e32 v13, 0x7fc0
	v_add_nc_u32_e32 v12, v5, v15
	v_add_nc_u32_e32 v11, v4, v14
	s_ashr_i32 s67, s9, 31
	s_lshl_b64 s[50:51], s[0:1], 1
	s_lshl_b64 s[52:53], s[6:7], 1
	s_branch .LBB9_3
.LBB9_2:                                ;   in Loop: Header=BB9_3 Depth=1
	v_mul_lo_u32 v2, v15, s15
	v_mul_lo_u32 v4, s36, v1
	v_bfe_u32 v5, v18, 16, 1
	v_mul_lo_u32 v15, s37, v17
	v_cmp_o_f32_e32 vcc_lo, v18, v18
	v_mul_lo_u32 v17, s38, v16
	v_mul_lo_u32 v1, s39, v14
	v_add3_u32 v6, v18, v5, 0x7fff
	v_ashrrev_i32_e32 v3, 31, v2
	v_ashrrev_i32_e32 v5, 31, v4
	;; [unrolled: 1-line block ×3, first 2 shown]
	v_cndmask_b32_sdwa v6, v13, v6, vcc_lo dst_sel:DWORD dst_unused:UNUSED_PAD src0_sel:DWORD src1_sel:WORD_1
	v_lshlrev_b64 v[2:3], 1, v[2:3]
	v_lshlrev_b64 v[4:5], 1, v[4:5]
	v_ashrrev_i32_e32 v18, 31, v17
	v_add_co_u32 v14, vcc_lo, s46, v2
	v_add_co_ci_u32_e64 v19, null, s47, v3, vcc_lo
	v_lshlrev_b64 v[2:3], 1, v[15:16]
	v_add_co_u32 v14, vcc_lo, v14, v4
	v_add_co_ci_u32_e64 v15, null, v19, v5, vcc_lo
	v_lshlrev_b64 v[4:5], 1, v[17:18]
	v_add_co_u32 v16, vcc_lo, v14, v2
	v_add_co_ci_u32_e64 v3, null, v15, v3, vcc_lo
	v_add_co_u32 v0, vcc_lo, v0, s63
	v_ashrrev_i32_e32 v2, 31, v1
	v_add_co_ci_u32_e64 v7, null, 0, v7, vcc_lo
	v_add_co_u32 v14, vcc_lo, s33, v0
	v_lshlrev_b64 v[1:2], 1, v[1:2]
	v_add_co_ci_u32_e64 v15, null, s20, v7, vcc_lo
	v_add_co_u32 v4, vcc_lo, v16, v4
	v_add_co_ci_u32_e64 v3, null, v3, v5, vcc_lo
	v_cmp_le_i64_e32 vcc_lo, s[34:35], v[14:15]
	v_add_co_u32 v1, s0, v4, v1
	v_add_co_ci_u32_e64 v2, null, v3, v2, s0
	s_or_b32 s59, vcc_lo, s59
	global_store_short v[1:2], v6, off
	s_andn2_b32 exec_lo, exec_lo, s59
	s_cbranch_execz .LBB9_59
.LBB9_3:                                ; =>This Inner Loop Header: Depth=1
	v_add_nc_u32_e32 v2, s33, v0
	v_sub_nc_u32_e32 v1, 0, v2
	v_max_i32_e32 v1, v2, v1
	v_mul_hi_u32 v3, v1, v8
	v_mul_lo_u32 v4, v3, s57
	v_sub_nc_u32_e32 v1, v1, v4
	v_add_nc_u32_e32 v4, 1, v3
	v_subrev_nc_u32_e32 v5, s57, v1
	v_cmp_le_u32_e32 vcc_lo, s57, v1
	v_cndmask_b32_e32 v3, v3, v4, vcc_lo
	v_cndmask_b32_e32 v1, v1, v5, vcc_lo
	v_ashrrev_i32_e32 v4, 31, v2
	v_add_nc_u32_e32 v5, 1, v3
	v_cmp_le_u32_e32 vcc_lo, s57, v1
	v_xor_b32_e32 v4, s64, v4
	v_cndmask_b32_e32 v1, v3, v5, vcc_lo
	v_xor_b32_e32 v1, v1, v4
	v_sub_nc_u32_e32 v4, v1, v4
	v_sub_nc_u32_e32 v1, 0, v4
	v_max_i32_e32 v1, v4, v1
	v_mul_hi_u32 v3, v1, v9
	v_mul_lo_u32 v5, v3, s58
	v_sub_nc_u32_e32 v1, v1, v5
	v_add_nc_u32_e32 v5, 1, v3
	v_subrev_nc_u32_e32 v6, s58, v1
	v_cmp_le_u32_e32 vcc_lo, s58, v1
	v_cndmask_b32_e32 v3, v3, v5, vcc_lo
	v_cndmask_b32_e32 v1, v1, v6, vcc_lo
	v_ashrrev_i32_e32 v5, 31, v4
	v_add_nc_u32_e32 v6, 1, v3
	v_cmp_le_u32_e32 vcc_lo, s58, v1
	v_xor_b32_e32 v5, s65, v5
	v_cndmask_b32_e32 v1, v3, v6, vcc_lo
	v_xor_b32_e32 v1, v1, v5
	v_sub_nc_u32_e32 v5, v1, v5
	v_sub_nc_u32_e32 v1, 0, v5
	v_mul_lo_u32 v16, v5, s23
	v_max_i32_e32 v1, v5, v1
	v_sub_nc_u32_e32 v16, v4, v16
	v_mul_hi_u32 v3, v1, v10
	v_mul_lo_u32 v19, v16, s25
	v_mul_lo_u32 v6, v3, s60
	v_sub_nc_u32_e32 v1, v1, v6
	v_add_nc_u32_e32 v6, 1, v3
	v_subrev_nc_u32_e32 v14, s60, v1
	v_cmp_le_u32_e32 vcc_lo, s60, v1
	v_cndmask_b32_e32 v3, v3, v6, vcc_lo
	v_cndmask_b32_e32 v1, v1, v14, vcc_lo
	v_ashrrev_i32_e32 v6, 31, v5
	v_add_nc_u32_e32 v14, 1, v3
	v_cmp_le_u32_e32 vcc_lo, s60, v1
	v_xor_b32_e32 v6, s66, v6
	v_cndmask_b32_e32 v1, v3, v14, vcc_lo
	v_xor_b32_e32 v1, v1, v6
	v_sub_nc_u32_e32 v6, v1, v6
	v_sub_nc_u32_e32 v1, 0, v6
	v_max_i32_e32 v1, v6, v1
	v_mul_hi_u32 v3, v1, v11
	v_mul_lo_u32 v14, v3, s55
	v_sub_nc_u32_e32 v1, v1, v14
	v_add_nc_u32_e32 v14, 1, v3
	v_subrev_nc_u32_e32 v15, s55, v1
	v_cmp_le_u32_e32 vcc_lo, s55, v1
	v_cndmask_b32_e32 v3, v3, v14, vcc_lo
	v_cndmask_b32_e32 v1, v1, v15, vcc_lo
	v_ashrrev_i32_e32 v14, 31, v6
	v_add_nc_u32_e32 v15, 1, v3
	v_cmp_le_u32_e32 vcc_lo, s55, v1
	v_xor_b32_e32 v14, s54, v14
	v_cndmask_b32_e32 v1, v3, v15, vcc_lo
	v_mul_lo_u32 v3, v4, s14
	v_xor_b32_e32 v1, v1, v14
	v_sub_nc_u32_e32 v15, v1, v14
	v_mul_lo_u32 v1, v15, s21
	v_sub_nc_u32_e32 v1, v6, v1
	v_mul_lo_u32 v6, v6, s22
	v_sub_nc_u32_e32 v14, 0, v1
	v_max_i32_e32 v17, v1, v14
	v_sub_nc_u32_e32 v14, v2, v3
	v_mul_hi_u32 v2, v17, v12
	v_mul_lo_u32 v3, v14, s26
	v_mul_lo_u32 v18, v2, s61
	v_add_nc_u32_e32 v4, 1, v2
	v_subrev_nc_u32_e32 v21, s43, v3
	v_mul_lo_u32 v3, s62, v21
	v_sub_nc_u32_e32 v18, v17, v18
	v_sub_nc_u32_e32 v17, v5, v6
	v_cmp_lt_i32_e64 s0, -1, v21
	v_subrev_nc_u32_e32 v20, s61, v18
	v_cmp_le_u32_e32 vcc_lo, s61, v18
	v_cndmask_b32_e32 v22, v2, v4, vcc_lo
	v_cndmask_b32_e32 v5, v18, v20, vcc_lo
	v_ashrrev_i32_e32 v2, 31, v1
	v_ashrrev_i32_e32 v4, 31, v3
	v_mul_lo_u32 v18, v17, s24
	v_add_nc_u32_e32 v6, 1, v22
	v_cmp_le_u32_e32 vcc_lo, s61, v5
	v_xor_b32_e32 v24, s67, v2
	v_subrev_nc_u32_e32 v20, s42, v19
	v_cndmask_b32_e32 v6, v22, v6, vcc_lo
	v_lshlrev_b64 v[22:23], 1, v[3:4]
	v_mul_lo_u32 v3, s28, v15
	v_subrev_nc_u32_e32 v19, s27, v18
	v_mul_lo_u32 v5, s31, v20
	v_xor_b32_e32 v25, v6, v24
	v_cmp_gt_i32_e64 s5, s18, v20
	v_cmp_gt_i32_e32 vcc_lo, s19, v21
	v_or_b32_e32 v18, v19, v20
	v_cmp_gt_i32_e64 s11, s17, v19
	v_sub_nc_u32_e32 v4, v25, v24
	v_mul_lo_u32 v24, s30, v19
	v_ashrrev_i32_e32 v6, 31, v5
	v_or_b32_e32 v28, v18, v21
	v_cmp_lt_i32_e64 s4, -1, v18
	v_mul_lo_u32 v26, s29, v4
	v_ashrrev_i32_e32 v4, 31, v3
	v_lshlrev_b64 v[5:6], 1, v[5:6]
	v_cmp_lt_i32_e64 s1, -1, v28
	v_ashrrev_i32_e32 v25, 31, v24
	v_mul_lo_u32 v28, s16, v1
	v_lshlrev_b64 v[3:4], 1, v[3:4]
	v_cmp_lt_i32_e64 s7, -1, v20
	v_ashrrev_i32_e32 v27, 31, v26
	v_lshlrev_b64 v[24:25], 1, v[24:25]
	v_cmp_lt_i32_e64 s8, -1, v19
	v_add_co_u32 v3, s2, s44, v3
	v_lshlrev_b64 v[26:27], 1, v[26:27]
	v_add_co_ci_u32_e64 v4, null, s45, v4, s2
	s_and_b32 s2, s1, s11
	v_ashrrev_i32_e32 v29, 31, v28
	v_add_co_u32 v3, s1, v3, v26
	v_add_co_ci_u32_e64 v4, null, v4, v27, s1
	v_add_co_u32 v18, s1, v3, v24
	v_add_co_ci_u32_e64 v24, null, v4, v25, s1
	v_lshlrev_b64 v[3:4], 1, v[28:29]
	v_add_co_u32 v5, s1, v18, v5
	v_add_co_ci_u32_e64 v6, null, v24, v6, s1
	v_mov_b32_e32 v18, 0
	v_add_co_u32 v3, s1, s48, v3
	v_add_co_ci_u32_e64 v4, null, s49, v4, s1
	v_add_co_u32 v5, s1, v5, v22
	v_add_co_ci_u32_e64 v6, null, v6, v23, s1
	s_and_b32 s1, s2, s5
	s_and_b32 s2, s1, vcc_lo
	s_and_saveexec_b32 s1, s2
	s_cbranch_execz .LBB9_5
; %bb.4:                                ;   in Loop: Header=BB9_3 Depth=1
	global_load_ushort v18, v[5:6], off
	global_load_ushort v22, v[3:4], off
	s_waitcnt vmcnt(1)
	v_lshlrev_b32_e32 v18, 16, v18
	s_waitcnt vmcnt(0)
	v_lshlrev_b32_e32 v22, 16, v22
	v_fma_f32 v18, v22, v18, 0
.LBB9_5:                                ;   in Loop: Header=BB9_3 Depth=1
	s_or_b32 exec_lo, exec_lo, s1
	v_cmp_lt_i32_e64 s1, -2, v21
	v_add_nc_u32_e32 v22, 1, v21
	s_and_b32 s3, s4, s1
	v_cmp_gt_i32_e64 s2, s19, v22
	s_and_b32 s3, s3, s11
	s_and_b32 s3, s3, s5
	;; [unrolled: 1-line block ×3, first 2 shown]
	s_and_saveexec_b32 s3, s6
	s_cbranch_execz .LBB9_7
; %bb.6:                                ;   in Loop: Header=BB9_3 Depth=1
	global_load_ushort v22, v[5:6], off offset:2
	global_load_ushort v23, v[3:4], off offset:2
	s_waitcnt vmcnt(1)
	v_lshlrev_b32_e32 v22, 16, v22
	s_waitcnt vmcnt(0)
	v_lshlrev_b32_e32 v23, 16, v23
	v_fmac_f32_e32 v18, v23, v22
.LBB9_7:                                ;   in Loop: Header=BB9_3 Depth=1
	s_or_b32 exec_lo, exec_lo, s3
	v_cmp_lt_i32_e64 s3, -3, v21
	v_add_nc_u32_e32 v21, 2, v21
	s_and_b32 s6, s4, s3
	v_cmp_gt_i32_e64 s4, s19, v21
	s_and_b32 s6, s6, s11
	s_and_b32 s6, s6, s5
	;; [unrolled: 1-line block ×3, first 2 shown]
	s_and_saveexec_b32 s6, s9
	s_cbranch_execz .LBB9_9
; %bb.8:                                ;   in Loop: Header=BB9_3 Depth=1
	global_load_ushort v21, v[5:6], off offset:4
	global_load_ushort v22, v[3:4], off offset:4
	s_waitcnt vmcnt(1)
	v_lshlrev_b32_e32 v21, 16, v21
	s_waitcnt vmcnt(0)
	v_lshlrev_b32_e32 v22, 16, v22
	v_fmac_f32_e32 v18, v22, v21
.LBB9_9:                                ;   in Loop: Header=BB9_3 Depth=1
	s_or_b32 exec_lo, exec_lo, s6
	v_cmp_lt_i32_e64 s9, -2, v20
	v_add_nc_u32_e32 v21, 1, v20
	s_and_b32 s12, s8, s9
	v_cmp_gt_i32_e64 s6, s18, v21
	s_and_b32 s10, s12, s0
	s_and_b32 s13, s10, s11
	v_add_co_u32 v5, s10, v5, s50
	v_add_co_ci_u32_e64 v6, null, s51, v6, s10
	s_and_b32 s10, s13, s6
	s_and_b32 s13, s10, vcc_lo
	s_and_saveexec_b32 s10, s13
	s_cbranch_execz .LBB9_11
; %bb.10:                               ;   in Loop: Header=BB9_3 Depth=1
	global_load_ushort v21, v[5:6], off
	global_load_ushort v22, v[3:4], off offset:6
	s_waitcnt vmcnt(1)
	v_lshlrev_b32_e32 v21, 16, v21
	s_waitcnt vmcnt(0)
	v_lshlrev_b32_e32 v22, 16, v22
	v_fmac_f32_e32 v18, v22, v21
.LBB9_11:                               ;   in Loop: Header=BB9_3 Depth=1
	s_or_b32 exec_lo, exec_lo, s10
	s_and_b32 s10, s12, s1
	s_and_b32 s10, s10, s11
	;; [unrolled: 1-line block ×4, first 2 shown]
	s_and_saveexec_b32 s10, s13
	s_cbranch_execz .LBB9_13
; %bb.12:                               ;   in Loop: Header=BB9_3 Depth=1
	global_load_ushort v21, v[5:6], off offset:2
	global_load_ushort v22, v[3:4], off offset:8
	s_waitcnt vmcnt(1)
	v_lshlrev_b32_e32 v21, 16, v21
	s_waitcnt vmcnt(0)
	v_lshlrev_b32_e32 v22, 16, v22
	v_fmac_f32_e32 v18, v22, v21
.LBB9_13:                               ;   in Loop: Header=BB9_3 Depth=1
	s_or_b32 exec_lo, exec_lo, s10
	s_and_b32 s10, s12, s3
	s_and_b32 s10, s10, s11
	;; [unrolled: 1-line block ×4, first 2 shown]
	s_and_saveexec_b32 s10, s12
	s_cbranch_execz .LBB9_15
; %bb.14:                               ;   in Loop: Header=BB9_3 Depth=1
	global_load_ushort v21, v[5:6], off offset:4
	global_load_ushort v22, v[3:4], off offset:10
	s_waitcnt vmcnt(1)
	v_lshlrev_b32_e32 v21, 16, v21
	s_waitcnt vmcnt(0)
	v_lshlrev_b32_e32 v22, 16, v22
	v_fmac_f32_e32 v18, v22, v21
.LBB9_15:                               ;   in Loop: Header=BB9_3 Depth=1
	s_or_b32 exec_lo, exec_lo, s10
	v_cmp_lt_i32_e64 s10, -3, v20
	v_add_nc_u32_e32 v20, 2, v20
	s_and_b32 s13, s8, s10
	v_cmp_gt_i32_e64 s8, s18, v20
	s_and_b32 s12, s13, s0
	s_and_b32 s68, s12, s11
	v_add_co_u32 v5, s12, v5, s50
	v_add_co_ci_u32_e64 v6, null, s51, v6, s12
	s_and_b32 s12, s68, s8
	s_and_b32 s68, s12, vcc_lo
	s_and_saveexec_b32 s12, s68
	s_cbranch_execz .LBB9_17
; %bb.16:                               ;   in Loop: Header=BB9_3 Depth=1
	global_load_ushort v20, v[5:6], off
	global_load_ushort v21, v[3:4], off offset:12
	s_waitcnt vmcnt(1)
	v_lshlrev_b32_e32 v20, 16, v20
	s_waitcnt vmcnt(0)
	v_lshlrev_b32_e32 v21, 16, v21
	v_fmac_f32_e32 v18, v21, v20
.LBB9_17:                               ;   in Loop: Header=BB9_3 Depth=1
	s_or_b32 exec_lo, exec_lo, s12
	s_and_b32 s12, s13, s1
	s_and_b32 s12, s12, s11
	;; [unrolled: 1-line block ×4, first 2 shown]
	s_and_saveexec_b32 s12, s68
	s_cbranch_execz .LBB9_19
; %bb.18:                               ;   in Loop: Header=BB9_3 Depth=1
	global_load_ushort v20, v[5:6], off offset:2
	global_load_ushort v21, v[3:4], off offset:14
	s_waitcnt vmcnt(1)
	v_lshlrev_b32_e32 v20, 16, v20
	s_waitcnt vmcnt(0)
	v_lshlrev_b32_e32 v21, 16, v21
	v_fmac_f32_e32 v18, v21, v20
.LBB9_19:                               ;   in Loop: Header=BB9_3 Depth=1
	s_or_b32 exec_lo, exec_lo, s12
	s_and_b32 s12, s13, s3
	s_and_b32 s11, s12, s11
	;; [unrolled: 1-line block ×4, first 2 shown]
	s_and_saveexec_b32 s11, s12
	s_cbranch_execz .LBB9_21
; %bb.20:                               ;   in Loop: Header=BB9_3 Depth=1
	global_load_ushort v20, v[5:6], off offset:4
	global_load_ushort v21, v[3:4], off offset:16
	s_waitcnt vmcnt(1)
	v_lshlrev_b32_e32 v20, 16, v20
	s_waitcnt vmcnt(0)
	v_lshlrev_b32_e32 v21, 16, v21
	v_fmac_f32_e32 v18, v21, v20
.LBB9_21:                               ;   in Loop: Header=BB9_3 Depth=1
	s_or_b32 exec_lo, exec_lo, s11
	v_add_nc_u32_e32 v20, 1, v19
	v_cmp_lt_i32_e64 s12, -2, v19
	v_add_co_u32 v5, s13, v5, s50
	v_add_co_ci_u32_e64 v6, null, s51, v6, s13
	v_cmp_gt_i32_e64 s11, s17, v20
	s_and_b32 s68, s12, s7
	v_add_co_u32 v5, s13, v5, s52
	s_and_b32 s69, s68, s0
	v_add_co_ci_u32_e64 v6, null, s53, v6, s13
	s_and_b32 s69, s69, s11
	s_and_b32 s13, s69, s5
	s_and_b32 s69, s13, vcc_lo
	s_and_saveexec_b32 s13, s69
	s_cbranch_execz .LBB9_23
; %bb.22:                               ;   in Loop: Header=BB9_3 Depth=1
	global_load_ushort v20, v[5:6], off
	global_load_ushort v21, v[3:4], off offset:18
	s_waitcnt vmcnt(1)
	v_lshlrev_b32_e32 v20, 16, v20
	s_waitcnt vmcnt(0)
	v_lshlrev_b32_e32 v21, 16, v21
	v_fmac_f32_e32 v18, v21, v20
.LBB9_23:                               ;   in Loop: Header=BB9_3 Depth=1
	s_or_b32 exec_lo, exec_lo, s13
	s_and_b32 s13, s68, s1
	s_and_b32 s13, s13, s11
	;; [unrolled: 1-line block ×4, first 2 shown]
	s_and_saveexec_b32 s13, s69
	s_cbranch_execz .LBB9_25
; %bb.24:                               ;   in Loop: Header=BB9_3 Depth=1
	global_load_ushort v20, v[5:6], off offset:2
	global_load_ushort v21, v[3:4], off offset:20
	s_waitcnt vmcnt(1)
	v_lshlrev_b32_e32 v20, 16, v20
	s_waitcnt vmcnt(0)
	v_lshlrev_b32_e32 v21, 16, v21
	v_fmac_f32_e32 v18, v21, v20
.LBB9_25:                               ;   in Loop: Header=BB9_3 Depth=1
	s_or_b32 exec_lo, exec_lo, s13
	s_and_b32 s13, s68, s3
	s_and_b32 s13, s13, s11
	;; [unrolled: 1-line block ×4, first 2 shown]
	s_and_saveexec_b32 s13, s68
	s_cbranch_execz .LBB9_27
; %bb.26:                               ;   in Loop: Header=BB9_3 Depth=1
	global_load_ushort v20, v[5:6], off offset:4
	global_load_ushort v21, v[3:4], off offset:22
	s_waitcnt vmcnt(1)
	v_lshlrev_b32_e32 v20, 16, v20
	s_waitcnt vmcnt(0)
	v_lshlrev_b32_e32 v21, 16, v21
	v_fmac_f32_e32 v18, v21, v20
.LBB9_27:                               ;   in Loop: Header=BB9_3 Depth=1
	s_or_b32 exec_lo, exec_lo, s13
	s_and_b32 s68, s12, s9
	s_and_b32 s13, s68, s0
	;; [unrolled: 1-line block ×3, first 2 shown]
	v_add_co_u32 v5, s13, v5, s50
	v_add_co_ci_u32_e64 v6, null, s51, v6, s13
	s_and_b32 s13, s69, s6
	s_and_b32 s69, s13, vcc_lo
	s_and_saveexec_b32 s13, s69
	s_cbranch_execz .LBB9_29
; %bb.28:                               ;   in Loop: Header=BB9_3 Depth=1
	global_load_ushort v20, v[5:6], off
	global_load_ushort v21, v[3:4], off offset:24
	s_waitcnt vmcnt(1)
	v_lshlrev_b32_e32 v20, 16, v20
	s_waitcnt vmcnt(0)
	v_lshlrev_b32_e32 v21, 16, v21
	v_fmac_f32_e32 v18, v21, v20
.LBB9_29:                               ;   in Loop: Header=BB9_3 Depth=1
	s_or_b32 exec_lo, exec_lo, s13
	s_and_b32 s13, s68, s1
	s_and_b32 s13, s13, s11
	;; [unrolled: 1-line block ×4, first 2 shown]
	s_and_saveexec_b32 s13, s69
	s_cbranch_execz .LBB9_31
; %bb.30:                               ;   in Loop: Header=BB9_3 Depth=1
	global_load_ushort v20, v[5:6], off offset:2
	global_load_ushort v21, v[3:4], off offset:26
	s_waitcnt vmcnt(1)
	v_lshlrev_b32_e32 v20, 16, v20
	s_waitcnt vmcnt(0)
	v_lshlrev_b32_e32 v21, 16, v21
	v_fmac_f32_e32 v18, v21, v20
.LBB9_31:                               ;   in Loop: Header=BB9_3 Depth=1
	s_or_b32 exec_lo, exec_lo, s13
	s_and_b32 s13, s68, s3
	s_and_b32 s13, s13, s11
	;; [unrolled: 1-line block ×4, first 2 shown]
	s_and_saveexec_b32 s13, s68
	s_cbranch_execz .LBB9_33
; %bb.32:                               ;   in Loop: Header=BB9_3 Depth=1
	global_load_ushort v20, v[5:6], off offset:4
	global_load_ushort v21, v[3:4], off offset:28
	s_waitcnt vmcnt(1)
	v_lshlrev_b32_e32 v20, 16, v20
	s_waitcnt vmcnt(0)
	v_lshlrev_b32_e32 v21, 16, v21
	v_fmac_f32_e32 v18, v21, v20
.LBB9_33:                               ;   in Loop: Header=BB9_3 Depth=1
	s_or_b32 exec_lo, exec_lo, s13
	s_and_b32 s13, s12, s10
	s_and_b32 s12, s13, s0
	;; [unrolled: 1-line block ×3, first 2 shown]
	v_add_co_u32 v5, s12, v5, s50
	v_add_co_ci_u32_e64 v6, null, s51, v6, s12
	s_and_b32 s12, s68, s8
	s_and_b32 s68, s12, vcc_lo
	s_and_saveexec_b32 s12, s68
	s_cbranch_execz .LBB9_35
; %bb.34:                               ;   in Loop: Header=BB9_3 Depth=1
	global_load_ushort v20, v[5:6], off
	global_load_ushort v21, v[3:4], off offset:30
	s_waitcnt vmcnt(1)
	v_lshlrev_b32_e32 v20, 16, v20
	s_waitcnt vmcnt(0)
	v_lshlrev_b32_e32 v21, 16, v21
	v_fmac_f32_e32 v18, v21, v20
.LBB9_35:                               ;   in Loop: Header=BB9_3 Depth=1
	s_or_b32 exec_lo, exec_lo, s12
	s_and_b32 s12, s13, s1
	s_and_b32 s12, s12, s11
	;; [unrolled: 1-line block ×4, first 2 shown]
	s_and_saveexec_b32 s12, s68
	s_cbranch_execz .LBB9_37
; %bb.36:                               ;   in Loop: Header=BB9_3 Depth=1
	global_load_ushort v20, v[5:6], off offset:2
	global_load_ushort v21, v[3:4], off offset:32
	s_waitcnt vmcnt(1)
	v_lshlrev_b32_e32 v20, 16, v20
	s_waitcnt vmcnt(0)
	v_lshlrev_b32_e32 v21, 16, v21
	v_fmac_f32_e32 v18, v21, v20
.LBB9_37:                               ;   in Loop: Header=BB9_3 Depth=1
	s_or_b32 exec_lo, exec_lo, s12
	s_and_b32 s12, s13, s3
	s_and_b32 s11, s12, s11
	;; [unrolled: 1-line block ×4, first 2 shown]
	s_and_saveexec_b32 s11, s12
	s_cbranch_execz .LBB9_39
; %bb.38:                               ;   in Loop: Header=BB9_3 Depth=1
	global_load_ushort v20, v[5:6], off offset:4
	global_load_ushort v21, v[3:4], off offset:34
	s_waitcnt vmcnt(1)
	v_lshlrev_b32_e32 v20, 16, v20
	s_waitcnt vmcnt(0)
	v_lshlrev_b32_e32 v21, 16, v21
	v_fmac_f32_e32 v18, v21, v20
.LBB9_39:                               ;   in Loop: Header=BB9_3 Depth=1
	s_or_b32 exec_lo, exec_lo, s11
	v_cmp_lt_i32_e64 s11, -3, v19
	v_add_nc_u32_e32 v19, 2, v19
	v_add_co_u32 v5, s12, v5, s50
	v_add_co_ci_u32_e64 v6, null, s51, v6, s12
	s_and_b32 s13, s11, s7
	v_cmp_gt_i32_e64 s7, s17, v19
	s_and_b32 s68, s13, s0
	v_add_co_u32 v5, s12, v5, s52
	v_add_co_ci_u32_e64 v6, null, s53, v6, s12
	s_and_b32 s68, s68, s7
	s_and_b32 s12, s68, s5
	s_and_b32 s68, s12, vcc_lo
	s_and_saveexec_b32 s12, s68
	s_cbranch_execz .LBB9_41
; %bb.40:                               ;   in Loop: Header=BB9_3 Depth=1
	global_load_ushort v19, v[5:6], off
	global_load_ushort v20, v[3:4], off offset:36
	s_waitcnt vmcnt(1)
	v_lshlrev_b32_e32 v19, 16, v19
	s_waitcnt vmcnt(0)
	v_lshlrev_b32_e32 v20, 16, v20
	v_fmac_f32_e32 v18, v20, v19
.LBB9_41:                               ;   in Loop: Header=BB9_3 Depth=1
	s_or_b32 exec_lo, exec_lo, s12
	s_and_b32 s12, s13, s1
	s_and_b32 s12, s12, s7
	;; [unrolled: 1-line block ×4, first 2 shown]
	s_and_saveexec_b32 s12, s68
	s_cbranch_execz .LBB9_43
; %bb.42:                               ;   in Loop: Header=BB9_3 Depth=1
	global_load_ushort v19, v[5:6], off offset:2
	global_load_ushort v20, v[3:4], off offset:38
	s_waitcnt vmcnt(1)
	v_lshlrev_b32_e32 v19, 16, v19
	s_waitcnt vmcnt(0)
	v_lshlrev_b32_e32 v20, 16, v20
	v_fmac_f32_e32 v18, v20, v19
.LBB9_43:                               ;   in Loop: Header=BB9_3 Depth=1
	s_or_b32 exec_lo, exec_lo, s12
	s_and_b32 s12, s13, s3
	s_and_b32 s12, s12, s7
	;; [unrolled: 1-line block ×4, first 2 shown]
	s_and_saveexec_b32 s5, s12
	s_cbranch_execz .LBB9_45
; %bb.44:                               ;   in Loop: Header=BB9_3 Depth=1
	global_load_ushort v19, v[5:6], off offset:4
	global_load_ushort v20, v[3:4], off offset:40
	s_waitcnt vmcnt(1)
	v_lshlrev_b32_e32 v19, 16, v19
	s_waitcnt vmcnt(0)
	v_lshlrev_b32_e32 v20, 16, v20
	v_fmac_f32_e32 v18, v20, v19
.LBB9_45:                               ;   in Loop: Header=BB9_3 Depth=1
	s_or_b32 exec_lo, exec_lo, s5
	s_and_b32 s9, s11, s9
	s_and_b32 s5, s9, s0
	;; [unrolled: 1-line block ×3, first 2 shown]
	v_add_co_u32 v5, s5, v5, s50
	v_add_co_ci_u32_e64 v6, null, s51, v6, s5
	s_and_b32 s5, s12, s6
	s_and_b32 s12, s5, vcc_lo
	s_and_saveexec_b32 s5, s12
	s_cbranch_execz .LBB9_47
; %bb.46:                               ;   in Loop: Header=BB9_3 Depth=1
	global_load_ushort v19, v[5:6], off
	global_load_ushort v20, v[3:4], off offset:42
	s_waitcnt vmcnt(1)
	v_lshlrev_b32_e32 v19, 16, v19
	s_waitcnt vmcnt(0)
	v_lshlrev_b32_e32 v20, 16, v20
	v_fmac_f32_e32 v18, v20, v19
.LBB9_47:                               ;   in Loop: Header=BB9_3 Depth=1
	s_or_b32 exec_lo, exec_lo, s5
	s_and_b32 s5, s9, s1
	s_and_b32 s5, s5, s7
	;; [unrolled: 1-line block ×4, first 2 shown]
	s_and_saveexec_b32 s5, s12
	s_cbranch_execz .LBB9_49
; %bb.48:                               ;   in Loop: Header=BB9_3 Depth=1
	global_load_ushort v19, v[5:6], off offset:2
	global_load_ushort v20, v[3:4], off offset:44
	s_waitcnt vmcnt(1)
	v_lshlrev_b32_e32 v19, 16, v19
	s_waitcnt vmcnt(0)
	v_lshlrev_b32_e32 v20, 16, v20
	v_fmac_f32_e32 v18, v20, v19
.LBB9_49:                               ;   in Loop: Header=BB9_3 Depth=1
	s_or_b32 exec_lo, exec_lo, s5
	s_and_b32 s5, s9, s3
	s_and_b32 s5, s5, s7
	;; [unrolled: 1-line block ×4, first 2 shown]
	s_and_saveexec_b32 s5, s6
	s_cbranch_execz .LBB9_51
; %bb.50:                               ;   in Loop: Header=BB9_3 Depth=1
	global_load_ushort v19, v[5:6], off offset:4
	global_load_ushort v20, v[3:4], off offset:46
	s_waitcnt vmcnt(1)
	v_lshlrev_b32_e32 v19, 16, v19
	s_waitcnt vmcnt(0)
	v_lshlrev_b32_e32 v20, 16, v20
	v_fmac_f32_e32 v18, v20, v19
.LBB9_51:                               ;   in Loop: Header=BB9_3 Depth=1
	s_or_b32 exec_lo, exec_lo, s5
	s_and_b32 s5, s11, s10
	s_and_b32 s0, s5, s0
	;; [unrolled: 1-line block ×3, first 2 shown]
	v_add_co_u32 v5, s0, v5, s50
	v_add_co_ci_u32_e64 v6, null, s51, v6, s0
	s_and_b32 s0, s6, s8
	s_and_b32 s6, s0, vcc_lo
	s_and_saveexec_b32 s0, s6
	s_cbranch_execz .LBB9_53
; %bb.52:                               ;   in Loop: Header=BB9_3 Depth=1
	global_load_ushort v19, v[5:6], off
	global_load_ushort v20, v[3:4], off offset:48
	s_waitcnt vmcnt(1)
	v_lshlrev_b32_e32 v19, 16, v19
	s_waitcnt vmcnt(0)
	v_lshlrev_b32_e32 v20, 16, v20
	v_fmac_f32_e32 v18, v20, v19
.LBB9_53:                               ;   in Loop: Header=BB9_3 Depth=1
	s_or_b32 exec_lo, exec_lo, s0
	s_and_b32 s0, s5, s1
	s_and_b32 s0, s0, s7
	;; [unrolled: 1-line block ×4, first 2 shown]
	s_and_saveexec_b32 s0, s1
	s_cbranch_execz .LBB9_55
; %bb.54:                               ;   in Loop: Header=BB9_3 Depth=1
	global_load_ushort v19, v[5:6], off offset:2
	global_load_ushort v20, v[3:4], off offset:50
	s_waitcnt vmcnt(1)
	v_lshlrev_b32_e32 v19, 16, v19
	s_waitcnt vmcnt(0)
	v_lshlrev_b32_e32 v20, 16, v20
	v_fmac_f32_e32 v18, v20, v19
.LBB9_55:                               ;   in Loop: Header=BB9_3 Depth=1
	s_or_b32 exec_lo, exec_lo, s0
	s_and_b32 s0, s5, s3
	s_and_b32 s0, s0, s7
	s_and_b32 s0, s0, s8
	s_and_b32 s1, s0, s4
	s_and_saveexec_b32 s0, s1
	s_cbranch_execz .LBB9_57
; %bb.56:                               ;   in Loop: Header=BB9_3 Depth=1
	global_load_ushort v5, v[5:6], off offset:4
	global_load_ushort v3, v[3:4], off offset:52
	s_waitcnt vmcnt(1)
	v_lshlrev_b32_e32 v4, 16, v5
	s_waitcnt vmcnt(0)
	v_lshlrev_b32_e32 v3, 16, v3
	v_fmac_f32_e32 v18, v3, v4
.LBB9_57:                               ;   in Loop: Header=BB9_3 Depth=1
	s_or_b32 exec_lo, exec_lo, s0
	s_andn2_b32 vcc_lo, exec_lo, s56
	s_cbranch_vccnz .LBB9_2
; %bb.58:                               ;   in Loop: Header=BB9_3 Depth=1
	v_lshlrev_b64 v[2:3], 1, v[1:2]
	v_add_co_u32 v2, vcc_lo, s40, v2
	v_add_co_ci_u32_e64 v3, null, s41, v3, vcc_lo
	global_load_ushort v2, v[2:3], off
	s_waitcnt vmcnt(0)
	v_lshlrev_b32_e32 v2, 16, v2
	v_add_f32_e32 v18, v18, v2
	s_branch .LBB9_2
.LBB9_59:
	s_endpgm
	.section	.rodata,"a",@progbits
	.p2align	6, 0x0
	.amdhsa_kernel _ZN2at6native12_GLOBAL__N_128conv_depthwise3d_cuda_kernelIN3c108BFloat16EfLi3ELi3ELi3ELi1ELi1ELi1EEEvN5torch10headeronly6detail27GenericPackedTensorAccessorINS7_14TensorAccessorINS3_8ArrayRefIlEEKT_Lm4ENS6_16DefaultPtrTraitsEiEENS_6detail16IndexBoundsCheckILm5EiEESD_Lm5ESE_iEENS8_INS9_ISB_SC_Lm4ESE_iEESI_SC_Lm5ESE_iEESJ_PSD_iiiiiiiii
		.amdhsa_group_segment_fixed_size 0
		.amdhsa_private_segment_fixed_size 0
		.amdhsa_kernarg_size 448
		.amdhsa_user_sgpr_count 6
		.amdhsa_user_sgpr_private_segment_buffer 1
		.amdhsa_user_sgpr_dispatch_ptr 0
		.amdhsa_user_sgpr_queue_ptr 0
		.amdhsa_user_sgpr_kernarg_segment_ptr 1
		.amdhsa_user_sgpr_dispatch_id 0
		.amdhsa_user_sgpr_flat_scratch_init 0
		.amdhsa_user_sgpr_private_segment_size 0
		.amdhsa_wavefront_size32 1
		.amdhsa_uses_dynamic_stack 0
		.amdhsa_system_sgpr_private_segment_wavefront_offset 0
		.amdhsa_system_sgpr_workgroup_id_x 1
		.amdhsa_system_sgpr_workgroup_id_y 0
		.amdhsa_system_sgpr_workgroup_id_z 0
		.amdhsa_system_sgpr_workgroup_info 0
		.amdhsa_system_vgpr_workitem_id 0
		.amdhsa_next_free_vgpr 30
		.amdhsa_next_free_sgpr 70
		.amdhsa_reserve_vcc 1
		.amdhsa_reserve_flat_scratch 0
		.amdhsa_float_round_mode_32 0
		.amdhsa_float_round_mode_16_64 0
		.amdhsa_float_denorm_mode_32 3
		.amdhsa_float_denorm_mode_16_64 3
		.amdhsa_dx10_clamp 1
		.amdhsa_ieee_mode 1
		.amdhsa_fp16_overflow 0
		.amdhsa_workgroup_processor_mode 1
		.amdhsa_memory_ordered 1
		.amdhsa_forward_progress 1
		.amdhsa_shared_vgpr_count 0
		.amdhsa_exception_fp_ieee_invalid_op 0
		.amdhsa_exception_fp_denorm_src 0
		.amdhsa_exception_fp_ieee_div_zero 0
		.amdhsa_exception_fp_ieee_overflow 0
		.amdhsa_exception_fp_ieee_underflow 0
		.amdhsa_exception_fp_ieee_inexact 0
		.amdhsa_exception_int_div_zero 0
	.end_amdhsa_kernel
	.section	.text._ZN2at6native12_GLOBAL__N_128conv_depthwise3d_cuda_kernelIN3c108BFloat16EfLi3ELi3ELi3ELi1ELi1ELi1EEEvN5torch10headeronly6detail27GenericPackedTensorAccessorINS7_14TensorAccessorINS3_8ArrayRefIlEEKT_Lm4ENS6_16DefaultPtrTraitsEiEENS_6detail16IndexBoundsCheckILm5EiEESD_Lm5ESE_iEENS8_INS9_ISB_SC_Lm4ESE_iEESI_SC_Lm5ESE_iEESJ_PSD_iiiiiiiii,"axG",@progbits,_ZN2at6native12_GLOBAL__N_128conv_depthwise3d_cuda_kernelIN3c108BFloat16EfLi3ELi3ELi3ELi1ELi1ELi1EEEvN5torch10headeronly6detail27GenericPackedTensorAccessorINS7_14TensorAccessorINS3_8ArrayRefIlEEKT_Lm4ENS6_16DefaultPtrTraitsEiEENS_6detail16IndexBoundsCheckILm5EiEESD_Lm5ESE_iEENS8_INS9_ISB_SC_Lm4ESE_iEESI_SC_Lm5ESE_iEESJ_PSD_iiiiiiiii,comdat
.Lfunc_end9:
	.size	_ZN2at6native12_GLOBAL__N_128conv_depthwise3d_cuda_kernelIN3c108BFloat16EfLi3ELi3ELi3ELi1ELi1ELi1EEEvN5torch10headeronly6detail27GenericPackedTensorAccessorINS7_14TensorAccessorINS3_8ArrayRefIlEEKT_Lm4ENS6_16DefaultPtrTraitsEiEENS_6detail16IndexBoundsCheckILm5EiEESD_Lm5ESE_iEENS8_INS9_ISB_SC_Lm4ESE_iEESI_SC_Lm5ESE_iEESJ_PSD_iiiiiiiii, .Lfunc_end9-_ZN2at6native12_GLOBAL__N_128conv_depthwise3d_cuda_kernelIN3c108BFloat16EfLi3ELi3ELi3ELi1ELi1ELi1EEEvN5torch10headeronly6detail27GenericPackedTensorAccessorINS7_14TensorAccessorINS3_8ArrayRefIlEEKT_Lm4ENS6_16DefaultPtrTraitsEiEENS_6detail16IndexBoundsCheckILm5EiEESD_Lm5ESE_iEENS8_INS9_ISB_SC_Lm4ESE_iEESI_SC_Lm5ESE_iEESJ_PSD_iiiiiiiii
                                        ; -- End function
	.set _ZN2at6native12_GLOBAL__N_128conv_depthwise3d_cuda_kernelIN3c108BFloat16EfLi3ELi3ELi3ELi1ELi1ELi1EEEvN5torch10headeronly6detail27GenericPackedTensorAccessorINS7_14TensorAccessorINS3_8ArrayRefIlEEKT_Lm4ENS6_16DefaultPtrTraitsEiEENS_6detail16IndexBoundsCheckILm5EiEESD_Lm5ESE_iEENS8_INS9_ISB_SC_Lm4ESE_iEESI_SC_Lm5ESE_iEESJ_PSD_iiiiiiiii.num_vgpr, 30
	.set _ZN2at6native12_GLOBAL__N_128conv_depthwise3d_cuda_kernelIN3c108BFloat16EfLi3ELi3ELi3ELi1ELi1ELi1EEEvN5torch10headeronly6detail27GenericPackedTensorAccessorINS7_14TensorAccessorINS3_8ArrayRefIlEEKT_Lm4ENS6_16DefaultPtrTraitsEiEENS_6detail16IndexBoundsCheckILm5EiEESD_Lm5ESE_iEENS8_INS9_ISB_SC_Lm4ESE_iEESI_SC_Lm5ESE_iEESJ_PSD_iiiiiiiii.num_agpr, 0
	.set _ZN2at6native12_GLOBAL__N_128conv_depthwise3d_cuda_kernelIN3c108BFloat16EfLi3ELi3ELi3ELi1ELi1ELi1EEEvN5torch10headeronly6detail27GenericPackedTensorAccessorINS7_14TensorAccessorINS3_8ArrayRefIlEEKT_Lm4ENS6_16DefaultPtrTraitsEiEENS_6detail16IndexBoundsCheckILm5EiEESD_Lm5ESE_iEENS8_INS9_ISB_SC_Lm4ESE_iEESI_SC_Lm5ESE_iEESJ_PSD_iiiiiiiii.numbered_sgpr, 70
	.set _ZN2at6native12_GLOBAL__N_128conv_depthwise3d_cuda_kernelIN3c108BFloat16EfLi3ELi3ELi3ELi1ELi1ELi1EEEvN5torch10headeronly6detail27GenericPackedTensorAccessorINS7_14TensorAccessorINS3_8ArrayRefIlEEKT_Lm4ENS6_16DefaultPtrTraitsEiEENS_6detail16IndexBoundsCheckILm5EiEESD_Lm5ESE_iEENS8_INS9_ISB_SC_Lm4ESE_iEESI_SC_Lm5ESE_iEESJ_PSD_iiiiiiiii.num_named_barrier, 0
	.set _ZN2at6native12_GLOBAL__N_128conv_depthwise3d_cuda_kernelIN3c108BFloat16EfLi3ELi3ELi3ELi1ELi1ELi1EEEvN5torch10headeronly6detail27GenericPackedTensorAccessorINS7_14TensorAccessorINS3_8ArrayRefIlEEKT_Lm4ENS6_16DefaultPtrTraitsEiEENS_6detail16IndexBoundsCheckILm5EiEESD_Lm5ESE_iEENS8_INS9_ISB_SC_Lm4ESE_iEESI_SC_Lm5ESE_iEESJ_PSD_iiiiiiiii.private_seg_size, 0
	.set _ZN2at6native12_GLOBAL__N_128conv_depthwise3d_cuda_kernelIN3c108BFloat16EfLi3ELi3ELi3ELi1ELi1ELi1EEEvN5torch10headeronly6detail27GenericPackedTensorAccessorINS7_14TensorAccessorINS3_8ArrayRefIlEEKT_Lm4ENS6_16DefaultPtrTraitsEiEENS_6detail16IndexBoundsCheckILm5EiEESD_Lm5ESE_iEENS8_INS9_ISB_SC_Lm4ESE_iEESI_SC_Lm5ESE_iEESJ_PSD_iiiiiiiii.uses_vcc, 1
	.set _ZN2at6native12_GLOBAL__N_128conv_depthwise3d_cuda_kernelIN3c108BFloat16EfLi3ELi3ELi3ELi1ELi1ELi1EEEvN5torch10headeronly6detail27GenericPackedTensorAccessorINS7_14TensorAccessorINS3_8ArrayRefIlEEKT_Lm4ENS6_16DefaultPtrTraitsEiEENS_6detail16IndexBoundsCheckILm5EiEESD_Lm5ESE_iEENS8_INS9_ISB_SC_Lm4ESE_iEESI_SC_Lm5ESE_iEESJ_PSD_iiiiiiiii.uses_flat_scratch, 0
	.set _ZN2at6native12_GLOBAL__N_128conv_depthwise3d_cuda_kernelIN3c108BFloat16EfLi3ELi3ELi3ELi1ELi1ELi1EEEvN5torch10headeronly6detail27GenericPackedTensorAccessorINS7_14TensorAccessorINS3_8ArrayRefIlEEKT_Lm4ENS6_16DefaultPtrTraitsEiEENS_6detail16IndexBoundsCheckILm5EiEESD_Lm5ESE_iEENS8_INS9_ISB_SC_Lm4ESE_iEESI_SC_Lm5ESE_iEESJ_PSD_iiiiiiiii.has_dyn_sized_stack, 0
	.set _ZN2at6native12_GLOBAL__N_128conv_depthwise3d_cuda_kernelIN3c108BFloat16EfLi3ELi3ELi3ELi1ELi1ELi1EEEvN5torch10headeronly6detail27GenericPackedTensorAccessorINS7_14TensorAccessorINS3_8ArrayRefIlEEKT_Lm4ENS6_16DefaultPtrTraitsEiEENS_6detail16IndexBoundsCheckILm5EiEESD_Lm5ESE_iEENS8_INS9_ISB_SC_Lm4ESE_iEESI_SC_Lm5ESE_iEESJ_PSD_iiiiiiiii.has_recursion, 0
	.set _ZN2at6native12_GLOBAL__N_128conv_depthwise3d_cuda_kernelIN3c108BFloat16EfLi3ELi3ELi3ELi1ELi1ELi1EEEvN5torch10headeronly6detail27GenericPackedTensorAccessorINS7_14TensorAccessorINS3_8ArrayRefIlEEKT_Lm4ENS6_16DefaultPtrTraitsEiEENS_6detail16IndexBoundsCheckILm5EiEESD_Lm5ESE_iEENS8_INS9_ISB_SC_Lm4ESE_iEESI_SC_Lm5ESE_iEESJ_PSD_iiiiiiiii.has_indirect_call, 0
	.section	.AMDGPU.csdata,"",@progbits
; Kernel info:
; codeLenInByte = 3768
; TotalNumSgprs: 72
; NumVgprs: 30
; ScratchSize: 0
; MemoryBound: 0
; FloatMode: 240
; IeeeMode: 1
; LDSByteSize: 0 bytes/workgroup (compile time only)
; SGPRBlocks: 0
; VGPRBlocks: 3
; NumSGPRsForWavesPerEU: 72
; NumVGPRsForWavesPerEU: 30
; Occupancy: 16
; WaveLimiterHint : 0
; COMPUTE_PGM_RSRC2:SCRATCH_EN: 0
; COMPUTE_PGM_RSRC2:USER_SGPR: 6
; COMPUTE_PGM_RSRC2:TRAP_HANDLER: 0
; COMPUTE_PGM_RSRC2:TGID_X_EN: 1
; COMPUTE_PGM_RSRC2:TGID_Y_EN: 0
; COMPUTE_PGM_RSRC2:TGID_Z_EN: 0
; COMPUTE_PGM_RSRC2:TIDIG_COMP_CNT: 0
	.section	.text._ZN2at6native12_GLOBAL__N_128conv_depthwise3d_cuda_kernelIN3c108BFloat16EfLin1ELin1ELin1ELi1ELi1ELi1EEEvN5torch10headeronly6detail27GenericPackedTensorAccessorINS7_14TensorAccessorINS3_8ArrayRefIlEEKT_Lm4ENS6_16DefaultPtrTraitsEiEENS_6detail16IndexBoundsCheckILm5EiEESD_Lm5ESE_iEENS8_INS9_ISB_SC_Lm4ESE_iEESI_SC_Lm5ESE_iEESJ_PSD_iiiiiiiii,"axG",@progbits,_ZN2at6native12_GLOBAL__N_128conv_depthwise3d_cuda_kernelIN3c108BFloat16EfLin1ELin1ELin1ELi1ELi1ELi1EEEvN5torch10headeronly6detail27GenericPackedTensorAccessorINS7_14TensorAccessorINS3_8ArrayRefIlEEKT_Lm4ENS6_16DefaultPtrTraitsEiEENS_6detail16IndexBoundsCheckILm5EiEESD_Lm5ESE_iEENS8_INS9_ISB_SC_Lm4ESE_iEESI_SC_Lm5ESE_iEESJ_PSD_iiiiiiiii,comdat
	.globl	_ZN2at6native12_GLOBAL__N_128conv_depthwise3d_cuda_kernelIN3c108BFloat16EfLin1ELin1ELin1ELi1ELi1ELi1EEEvN5torch10headeronly6detail27GenericPackedTensorAccessorINS7_14TensorAccessorINS3_8ArrayRefIlEEKT_Lm4ENS6_16DefaultPtrTraitsEiEENS_6detail16IndexBoundsCheckILm5EiEESD_Lm5ESE_iEENS8_INS9_ISB_SC_Lm4ESE_iEESI_SC_Lm5ESE_iEESJ_PSD_iiiiiiiii ; -- Begin function _ZN2at6native12_GLOBAL__N_128conv_depthwise3d_cuda_kernelIN3c108BFloat16EfLin1ELin1ELin1ELi1ELi1ELi1EEEvN5torch10headeronly6detail27GenericPackedTensorAccessorINS7_14TensorAccessorINS3_8ArrayRefIlEEKT_Lm4ENS6_16DefaultPtrTraitsEiEENS_6detail16IndexBoundsCheckILm5EiEESD_Lm5ESE_iEENS8_INS9_ISB_SC_Lm4ESE_iEESI_SC_Lm5ESE_iEESJ_PSD_iiiiiiiii
	.p2align	8
	.type	_ZN2at6native12_GLOBAL__N_128conv_depthwise3d_cuda_kernelIN3c108BFloat16EfLin1ELin1ELin1ELi1ELi1ELi1EEEvN5torch10headeronly6detail27GenericPackedTensorAccessorINS7_14TensorAccessorINS3_8ArrayRefIlEEKT_Lm4ENS6_16DefaultPtrTraitsEiEENS_6detail16IndexBoundsCheckILm5EiEESD_Lm5ESE_iEENS8_INS9_ISB_SC_Lm4ESE_iEESI_SC_Lm5ESE_iEESJ_PSD_iiiiiiiii,@function
_ZN2at6native12_GLOBAL__N_128conv_depthwise3d_cuda_kernelIN3c108BFloat16EfLin1ELin1ELin1ELi1ELi1ELi1EEEvN5torch10headeronly6detail27GenericPackedTensorAccessorINS7_14TensorAccessorINS3_8ArrayRefIlEEKT_Lm4ENS6_16DefaultPtrTraitsEiEENS_6detail16IndexBoundsCheckILm5EiEESD_Lm5ESE_iEENS8_INS9_ISB_SC_Lm4ESE_iEESI_SC_Lm5ESE_iEESJ_PSD_iiiiiiiii: ; @_ZN2at6native12_GLOBAL__N_128conv_depthwise3d_cuda_kernelIN3c108BFloat16EfLin1ELin1ELin1ELi1ELi1ELi1EEEvN5torch10headeronly6detail27GenericPackedTensorAccessorINS7_14TensorAccessorINS3_8ArrayRefIlEEKT_Lm4ENS6_16DefaultPtrTraitsEiEENS_6detail16IndexBoundsCheckILm5EiEESD_Lm5ESE_iEENS8_INS9_ISB_SC_Lm4ESE_iEESI_SC_Lm5ESE_iEESJ_PSD_iiiiiiiii
; %bb.0:
	s_clause 0x3
	s_load_dwordx4 s[8:11], s[4:5], 0xc
	s_load_dword s3, s[4:5], 0xcc
	s_load_dwordx4 s[12:15], s[4:5], 0x38
	s_load_dwordx2 s[28:29], s[4:5], 0x48
	s_waitcnt lgkmcnt(0)
	s_abs_i32 s2, s8
	s_add_u32 s0, s4, 0xc0
	v_cvt_f32_u32_e32 v1, s2
	s_addc_u32 s1, s5, 0
	s_and_b32 s44, s3, 0xffff
	s_mul_i32 s30, s29, s12
	s_ashr_i32 s31, s30, 31
	v_rcp_iflag_f32_e32 v2, v1
	v_mov_b32_e32 v1, 0
	v_mad_u64_u32 v[0:1], null, s44, s6, v[0:1]
	s_mov_b32 s6, exec_lo
	v_mul_f32_e32 v2, 0x4f7ffffe, v2
	v_cvt_u32_f32_e32 v2, v2
	v_readfirstlane_b32 s3, v2
	v_cmpx_gt_i64_e64 s[30:31], v[0:1]
	s_cbranch_execz .LBB10_17
; %bb.1:
	s_sub_i32 s6, 0, s2
	s_abs_i32 s33, s13
	s_mul_i32 s6, s6, s3
	s_clause 0x1
	s_load_dwordx4 s[16:19], s[4:5], 0x70
	s_load_dwordx2 s[34:35], s[4:5], 0x90
	s_mul_hi_u32 s6, s3, s6
	s_ashr_i32 s12, s13, 31
	s_add_i32 s3, s3, s6
	s_ashr_i32 s6, s8, 31
	s_mul_hi_u32 s3, s33, s3
	s_xor_b32 s6, s12, s6
	s_mul_i32 s7, s3, s2
	s_add_i32 s8, s3, 1
	s_sub_i32 s7, s33, s7
	v_cvt_f32_u32_e32 v2, s33
	s_waitcnt lgkmcnt(0)
	s_sub_i32 s19, s7, s2
	s_cmp_ge_u32 s7, s2
	s_load_dword s0, s[0:1], 0x0
	s_cselect_b32 s3, s8, s3
	s_cselect_b32 s7, s19, s7
	s_add_i32 s8, s3, 1
	s_cmp_ge_u32 s7, s2
	v_rcp_iflag_f32_e32 v2, v2
	s_cselect_b32 s2, s8, s3
	s_clause 0x1
	s_load_dword s8, s[4:5], 0x7c
	s_load_dwordx4 s[20:23], s[4:5], 0x98
	s_xor_b32 s2, s2, s6
	s_load_dwordx2 s[36:37], s[4:5], 0xa8
	s_sub_i32 s45, s2, s6
	s_cmp_gt_i32 s16, 0
	s_clause 0x1
	s_load_dwordx2 s[38:39], s[4:5], 0x0
	s_load_dwordx4 s[24:27], s[4:5], 0x1c
	s_cselect_b32 s19, -1, 0
	s_cmp_gt_i32 s17, 0
	v_mul_f32_e32 v2, 0x4f7ffffe, v2
	s_cselect_b32 s49, -1, 0
	s_cmp_gt_i32 s18, 0
	s_clause 0x1
	s_load_dword s56, s[4:5], 0x2c
	s_load_dwordx2 s[40:41], s[4:5], 0x30
	s_cselect_b32 s50, -1, 0
	s_sub_i32 s3, s10, s17
	s_sub_i32 s2, s11, s18
	s_mul_i32 s46, s11, s3
	s_ashr_i32 s3, s2, 31
	s_ashr_i32 s47, s46, 31
	s_cmp_lg_u64 s[34:35], 0
	v_cvt_u32_f32_e32 v2, v2
	s_cselect_b32 s51, -1, 0
	s_abs_i32 s52, s28
	s_abs_i32 s53, s15
	v_cvt_f32_u32_e32 v3, s52
	s_abs_i32 s54, s14
	v_cvt_f32_u32_e32 v4, s53
	v_cvt_f32_u32_e32 v5, s54
	s_abs_i32 s55, s45
	v_rcp_iflag_f32_e32 v3, v3
	v_cvt_f32_u32_e32 v6, s55
	v_rcp_iflag_f32_e32 v4, v4
	v_rcp_iflag_f32_e32 v5, v5
	s_sub_i32 s1, 0, s52
	s_sub_i32 s6, 0, s53
	v_rcp_iflag_f32_e32 v6, v6
	s_mov_b32 s48, 0
	s_waitcnt lgkmcnt(0)
	s_mul_i32 s57, s0, s44
	s_ashr_i32 s58, s28, 31
	v_mul_f32_e32 v3, 0x4f7ffffe, v3
	s_ashr_i32 s59, s15, 31
	v_mul_f32_e32 v4, 0x4f7ffffe, v4
	v_mul_f32_e32 v5, 0x4f7ffffe, v5
	s_ashr_i32 s60, s14, 31
	v_cvt_u32_f32_e32 v3, v3
	v_mul_f32_e32 v6, 0x4f7ffffe, v6
	v_cvt_u32_f32_e32 v4, v4
	v_cvt_u32_f32_e32 v5, v5
	s_ashr_i32 s61, s45, 31
	v_mul_lo_u32 v7, s1, v3
	v_cvt_u32_f32_e32 v6, v6
	s_sub_i32 s1, 0, s54
	v_mul_lo_u32 v8, s6, v4
	v_mul_lo_u32 v9, s1, v5
	s_sub_i32 s1, 0, s33
	s_sub_i32 s6, 0, s55
	v_mul_lo_u32 v10, s1, v2
	v_mul_lo_u32 v11, s6, v6
	s_clause 0x1
	s_load_dwordx2 s[42:43], s[4:5], 0x60
	s_load_dwordx4 s[4:7], s[4:5], 0x50
	v_mul_hi_u32 v7, v3, v7
	v_mul_hi_u32 v12, v4, v8
	;; [unrolled: 1-line block ×3, first 2 shown]
	s_lshl_b64 s[44:45], s[2:3], 1
	s_lshl_b64 s[46:47], s[46:47], 1
	v_mul_hi_u32 v14, v2, v10
	v_mul_hi_u32 v15, v6, v11
	v_add_nc_u32_e32 v8, v3, v7
	v_add_nc_u32_e32 v9, v4, v12
	;; [unrolled: 1-line block ×3, first 2 shown]
	v_mov_b32_e32 v13, 0x7fc0
	v_add_nc_u32_e32 v11, v2, v14
	v_add_nc_u32_e32 v12, v6, v15
	s_branch .LBB10_3
.LBB10_2:                               ;   in Loop: Header=BB10_3 Depth=1
	v_mul_lo_u32 v3, v17, s29
	s_waitcnt lgkmcnt(0)
	v_mul_lo_u32 v5, s4, v2
	v_bfe_u32 v6, v18, 16, 1
	v_mul_lo_u32 v2, s5, v16
	v_mul_lo_u32 v15, s6, v15
	v_mul_lo_u32 v17, s7, v14
	v_cmp_o_f32_e32 vcc_lo, v18, v18
	v_add3_u32 v7, v18, v6, 0x7fff
	v_ashrrev_i32_e32 v4, 31, v3
	v_ashrrev_i32_e32 v6, 31, v5
	;; [unrolled: 1-line block ×3, first 2 shown]
	v_lshlrev_b64 v[19:20], 1, v[3:4]
	v_ashrrev_i32_e32 v3, 31, v2
	v_lshlrev_b64 v[4:5], 1, v[5:6]
	v_ashrrev_i32_e32 v18, 31, v17
	v_lshlrev_b64 v[2:3], 1, v[2:3]
	v_add_co_u32 v6, s0, s40, v19
	v_add_co_ci_u32_e64 v14, null, s41, v20, s0
	v_add_co_u32 v4, s0, v6, v4
	v_add_co_ci_u32_e64 v5, null, v14, v5, s0
	v_cndmask_b32_sdwa v6, v13, v7, vcc_lo dst_sel:DWORD dst_unused:UNUSED_PAD src0_sel:DWORD src1_sel:WORD_1
	v_add_co_u32 v7, vcc_lo, v4, v2
	v_add_co_ci_u32_e64 v14, null, v5, v3, vcc_lo
	v_lshlrev_b64 v[2:3], 1, v[15:16]
	v_add_co_u32 v0, vcc_lo, v0, s57
	v_lshlrev_b64 v[4:5], 1, v[17:18]
	v_add_co_ci_u32_e64 v1, null, 0, v1, vcc_lo
	v_add_co_u32 v2, vcc_lo, v7, v2
	v_add_co_ci_u32_e64 v3, null, v14, v3, vcc_lo
	v_cmp_le_i64_e32 vcc_lo, s[30:31], v[0:1]
	v_add_co_u32 v2, s0, v2, v4
	v_add_co_ci_u32_e64 v3, null, v3, v5, s0
	s_or_b32 s48, vcc_lo, s48
	global_store_short v[2:3], v6, off
	s_andn2_b32 exec_lo, exec_lo, s48
	s_cbranch_execz .LBB10_17
.LBB10_3:                               ; =>This Loop Header: Depth=1
                                        ;     Child Loop BB10_6 Depth 2
                                        ;       Child Loop BB10_9 Depth 3
                                        ;         Child Loop BB10_12 Depth 4
	v_sub_nc_u32_e32 v2, 0, v0
	v_max_i32_e32 v2, v0, v2
	v_mul_hi_u32 v3, v2, v8
	v_mul_lo_u32 v4, v3, s52
	v_sub_nc_u32_e32 v2, v2, v4
	v_add_nc_u32_e32 v4, 1, v3
	v_subrev_nc_u32_e32 v5, s52, v2
	v_cmp_le_u32_e32 vcc_lo, s52, v2
	v_cndmask_b32_e32 v3, v3, v4, vcc_lo
	v_cndmask_b32_e32 v2, v2, v5, vcc_lo
	v_ashrrev_i32_e32 v4, 31, v0
	v_add_nc_u32_e32 v5, 1, v3
	v_cmp_le_u32_e32 vcc_lo, s52, v2
	v_xor_b32_e32 v4, s58, v4
	v_cndmask_b32_e32 v2, v3, v5, vcc_lo
	v_xor_b32_e32 v2, v2, v4
	v_sub_nc_u32_e32 v3, v2, v4
	v_sub_nc_u32_e32 v2, 0, v3
	v_max_i32_e32 v2, v3, v2
	v_mul_hi_u32 v4, v2, v9
	v_mul_lo_u32 v5, v4, s53
	v_sub_nc_u32_e32 v2, v2, v5
	v_add_nc_u32_e32 v5, 1, v4
	v_subrev_nc_u32_e32 v6, s53, v2
	v_cmp_le_u32_e32 vcc_lo, s53, v2
	v_cndmask_b32_e32 v4, v4, v5, vcc_lo
	v_cndmask_b32_e32 v2, v2, v6, vcc_lo
	v_ashrrev_i32_e32 v5, 31, v3
	v_add_nc_u32_e32 v6, 1, v4
	v_cmp_le_u32_e32 vcc_lo, s53, v2
	v_xor_b32_e32 v5, s59, v5
	v_cndmask_b32_e32 v2, v4, v6, vcc_lo
	v_xor_b32_e32 v2, v2, v5
	v_sub_nc_u32_e32 v4, v2, v5
	;; [unrolled: 17-line block ×3, first 2 shown]
	v_sub_nc_u32_e32 v5, 0, v2
	v_mul_lo_u32 v16, v2, s14
	v_max_i32_e32 v5, v2, v5
	v_sub_nc_u32_e32 v16, v4, v16
	v_mul_hi_u32 v6, v5, v11
	v_mul_lo_u32 v7, v6, s33
	v_sub_nc_u32_e32 v5, v5, v7
	v_add_nc_u32_e32 v7, 1, v6
	v_subrev_nc_u32_e32 v14, s33, v5
	v_cmp_le_u32_e32 vcc_lo, s33, v5
	v_cndmask_b32_e32 v6, v6, v7, vcc_lo
	v_cndmask_b32_e32 v5, v5, v14, vcc_lo
	v_ashrrev_i32_e32 v7, 31, v2
	v_add_nc_u32_e32 v14, 1, v6
	v_cmp_le_u32_e32 vcc_lo, s33, v5
	v_xor_b32_e32 v7, s12, v7
	v_cndmask_b32_e32 v5, v6, v14, vcc_lo
	v_mul_lo_u32 v6, v3, s28
	s_andn2_b32 vcc_lo, exec_lo, s19
	v_xor_b32_e32 v5, v5, v7
	v_sub_nc_u32_e32 v14, v0, v6
	v_sub_nc_u32_e32 v17, v5, v7
	v_mul_lo_u32 v7, v4, s15
	v_mul_lo_u32 v5, v17, s13
	v_sub_nc_u32_e32 v15, v3, v7
	v_sub_nc_u32_e32 v2, v2, v5
	v_ashrrev_i32_e32 v3, 31, v2
	s_cbranch_vccnz .LBB10_14
; %bb.4:                                ;   in Loop: Header=BB10_3 Depth=1
	v_sub_nc_u32_e32 v4, 0, v2
	v_mul_lo_u32 v18, v16, s20
	v_mul_lo_u32 v20, v15, s21
	s_mov_b32 s3, 0
	v_max_i32_e32 v4, v2, v4
	v_subrev_nc_u32_e32 v19, s23, v18
	v_mul_hi_u32 v5, v4, v12
	v_subrev_nc_u32_e32 v20, s36, v20
	v_mul_lo_u32 v24, s26, v19
	v_mul_lo_u32 v26, s27, v20
	;; [unrolled: 1-line block ×3, first 2 shown]
	v_ashrrev_i32_e32 v25, 31, v24
	v_ashrrev_i32_e32 v27, 31, v26
	v_sub_nc_u32_e32 v4, v4, v6
	v_add_nc_u32_e32 v6, 1, v5
	v_subrev_nc_u32_e32 v7, s55, v4
	v_cmp_le_u32_e32 vcc_lo, s55, v4
	v_cndmask_b32_e32 v5, v5, v6, vcc_lo
	v_cndmask_b32_e32 v4, v4, v7, vcc_lo
	v_xor_b32_e32 v7, s61, v3
	v_add_nc_u32_e32 v6, 1, v5
	v_cmp_le_u32_e32 vcc_lo, s55, v4
	v_cndmask_b32_e32 v4, v5, v6, vcc_lo
	v_mul_lo_u32 v6, s8, v2
	v_xor_b32_e32 v5, v4, v7
	v_mul_lo_u32 v4, s24, v17
	v_sub_nc_u32_e32 v5, v5, v7
	v_mul_lo_u32 v7, v14, s22
	v_mul_lo_u32 v22, s25, v5
	v_ashrrev_i32_e32 v5, 31, v4
	v_subrev_nc_u32_e32 v21, s37, v7
	v_ashrrev_i32_e32 v7, 31, v6
	v_lshlrev_b64 v[4:5], 1, v[4:5]
	v_ashrrev_i32_e32 v23, 31, v22
	v_mul_lo_u32 v28, s56, v21
	v_lshlrev_b64 v[6:7], 1, v[6:7]
	v_add_co_u32 v18, vcc_lo, s38, v4
	v_lshlrev_b64 v[22:23], 1, v[22:23]
	v_add_co_ci_u32_e64 v30, null, s39, v5, vcc_lo
	v_lshlrev_b64 v[4:5], 1, v[24:25]
	v_ashrrev_i32_e32 v29, 31, v28
	v_add_co_u32 v18, vcc_lo, v18, v22
	v_add_co_ci_u32_e64 v24, null, v30, v23, vcc_lo
	v_lshlrev_b64 v[22:23], 1, v[26:27]
	v_add_co_u32 v4, vcc_lo, v18, v4
	v_add_co_ci_u32_e64 v5, null, v24, v5, vcc_lo
	v_lshlrev_b64 v[24:25], 1, v[28:29]
	v_add_co_u32 v18, vcc_lo, v4, v22
	v_add_co_ci_u32_e64 v22, null, v5, v23, vcc_lo
	s_waitcnt lgkmcnt(0)
	v_add_co_u32 v4, vcc_lo, s42, v6
	v_add_co_ci_u32_e64 v5, null, s43, v7, vcc_lo
	v_add_co_u32 v6, vcc_lo, v18, v24
	v_add_co_ci_u32_e64 v7, null, v22, v25, vcc_lo
	v_mov_b32_e32 v18, 0
	s_branch .LBB10_6
.LBB10_5:                               ;   in Loop: Header=BB10_6 Depth=2
	s_inst_prefetch 0x2
	v_add_co_u32 v6, vcc_lo, v6, s46
	v_add_co_ci_u32_e64 v7, null, s47, v7, vcc_lo
	s_add_i32 s3, s3, 1
	s_cmp_eq_u32 s3, s16
	s_cbranch_scc1 .LBB10_15
.LBB10_6:                               ;   Parent Loop BB10_3 Depth=1
                                        ; =>  This Loop Header: Depth=2
                                        ;       Child Loop BB10_9 Depth 3
                                        ;         Child Loop BB10_12 Depth 4
	s_andn2_b32 vcc_lo, exec_lo, s49
	s_cbranch_vccnz .LBB10_5
; %bb.7:                                ;   in Loop: Header=BB10_6 Depth=2
	v_add_nc_u32_e32 v22, s3, v19
	s_mov_b32 s62, 0
	v_cmp_lt_i32_e64 s0, -1, v22
	v_cmp_gt_i32_e64 s1, s9, v22
	s_inst_prefetch 0x1
	s_branch .LBB10_9
	.p2align	6
.LBB10_8:                               ;   in Loop: Header=BB10_9 Depth=3
	v_add_co_u32 v6, vcc_lo, v6, s44
	v_add_co_ci_u32_e64 v7, null, s45, v7, vcc_lo
	s_add_i32 s62, s62, 1
	s_cmp_eq_u32 s62, s17
	s_cbranch_scc1 .LBB10_5
.LBB10_9:                               ;   Parent Loop BB10_3 Depth=1
                                        ;     Parent Loop BB10_6 Depth=2
                                        ; =>    This Loop Header: Depth=3
                                        ;         Child Loop BB10_12 Depth 4
	s_andn2_b32 vcc_lo, exec_lo, s50
	s_cbranch_vccnz .LBB10_8
; %bb.10:                               ;   in Loop: Header=BB10_9 Depth=3
	v_add_nc_u32_e32 v23, s62, v20
	v_mov_b32_e32 v22, v21
	s_mov_b32 s64, s18
	v_cmp_lt_i32_e64 s2, -1, v23
	v_cmp_gt_i32_e32 vcc_lo, s10, v23
	s_and_b32 s63, s0, s2
	s_branch .LBB10_12
	.p2align	6
.LBB10_11:                              ;   in Loop: Header=BB10_12 Depth=4
	s_or_b32 exec_lo, exec_lo, s2
	v_add_co_u32 v4, s2, v4, 2
	v_add_co_ci_u32_e64 v5, null, 0, v5, s2
	v_add_co_u32 v6, s2, v6, 2
	v_add_co_ci_u32_e64 v7, null, 0, v7, s2
	v_add_nc_u32_e32 v22, 1, v22
	s_add_i32 s64, s64, -1
	s_cmp_eq_u32 s64, 0
	s_cbranch_scc1 .LBB10_8
.LBB10_12:                              ;   Parent Loop BB10_3 Depth=1
                                        ;     Parent Loop BB10_6 Depth=2
                                        ;       Parent Loop BB10_9 Depth=3
                                        ; =>      This Inner Loop Header: Depth=4
	v_cmp_lt_i32_e64 s2, -1, v22
	s_and_b32 s65, s63, s2
	v_cmp_gt_i32_e64 s2, s11, v22
	s_and_b32 s65, s65, s1
	s_and_b32 s65, s65, vcc_lo
	s_and_b32 s65, s65, s2
	s_and_saveexec_b32 s2, s65
	s_cbranch_execz .LBB10_11
; %bb.13:                               ;   in Loop: Header=BB10_12 Depth=4
	global_load_ushort v23, v[6:7], off
	global_load_ushort v24, v[4:5], off
	s_waitcnt vmcnt(1)
	v_lshlrev_b32_e32 v23, 16, v23
	s_waitcnt vmcnt(0)
	v_lshlrev_b32_e32 v24, 16, v24
	v_fmac_f32_e32 v18, v24, v23
	s_branch .LBB10_11
.LBB10_14:                              ;   in Loop: Header=BB10_3 Depth=1
	v_mov_b32_e32 v18, 0
.LBB10_15:                              ;   in Loop: Header=BB10_3 Depth=1
	s_and_b32 vcc_lo, exec_lo, s51
	s_cbranch_vccz .LBB10_2
; %bb.16:                               ;   in Loop: Header=BB10_3 Depth=1
	v_lshlrev_b64 v[3:4], 1, v[2:3]
	v_add_co_u32 v3, vcc_lo, s34, v3
	v_add_co_ci_u32_e64 v4, null, s35, v4, vcc_lo
	global_load_ushort v3, v[3:4], off
	s_waitcnt vmcnt(0)
	v_lshlrev_b32_e32 v3, 16, v3
	v_add_f32_e32 v18, v18, v3
	s_branch .LBB10_2
.LBB10_17:
	s_endpgm
	.section	.rodata,"a",@progbits
	.p2align	6, 0x0
	.amdhsa_kernel _ZN2at6native12_GLOBAL__N_128conv_depthwise3d_cuda_kernelIN3c108BFloat16EfLin1ELin1ELin1ELi1ELi1ELi1EEEvN5torch10headeronly6detail27GenericPackedTensorAccessorINS7_14TensorAccessorINS3_8ArrayRefIlEEKT_Lm4ENS6_16DefaultPtrTraitsEiEENS_6detail16IndexBoundsCheckILm5EiEESD_Lm5ESE_iEENS8_INS9_ISB_SC_Lm4ESE_iEESI_SC_Lm5ESE_iEESJ_PSD_iiiiiiiii
		.amdhsa_group_segment_fixed_size 0
		.amdhsa_private_segment_fixed_size 0
		.amdhsa_kernarg_size 448
		.amdhsa_user_sgpr_count 6
		.amdhsa_user_sgpr_private_segment_buffer 1
		.amdhsa_user_sgpr_dispatch_ptr 0
		.amdhsa_user_sgpr_queue_ptr 0
		.amdhsa_user_sgpr_kernarg_segment_ptr 1
		.amdhsa_user_sgpr_dispatch_id 0
		.amdhsa_user_sgpr_flat_scratch_init 0
		.amdhsa_user_sgpr_private_segment_size 0
		.amdhsa_wavefront_size32 1
		.amdhsa_uses_dynamic_stack 0
		.amdhsa_system_sgpr_private_segment_wavefront_offset 0
		.amdhsa_system_sgpr_workgroup_id_x 1
		.amdhsa_system_sgpr_workgroup_id_y 0
		.amdhsa_system_sgpr_workgroup_id_z 0
		.amdhsa_system_sgpr_workgroup_info 0
		.amdhsa_system_vgpr_workitem_id 0
		.amdhsa_next_free_vgpr 31
		.amdhsa_next_free_sgpr 66
		.amdhsa_reserve_vcc 1
		.amdhsa_reserve_flat_scratch 0
		.amdhsa_float_round_mode_32 0
		.amdhsa_float_round_mode_16_64 0
		.amdhsa_float_denorm_mode_32 3
		.amdhsa_float_denorm_mode_16_64 3
		.amdhsa_dx10_clamp 1
		.amdhsa_ieee_mode 1
		.amdhsa_fp16_overflow 0
		.amdhsa_workgroup_processor_mode 1
		.amdhsa_memory_ordered 1
		.amdhsa_forward_progress 1
		.amdhsa_shared_vgpr_count 0
		.amdhsa_exception_fp_ieee_invalid_op 0
		.amdhsa_exception_fp_denorm_src 0
		.amdhsa_exception_fp_ieee_div_zero 0
		.amdhsa_exception_fp_ieee_overflow 0
		.amdhsa_exception_fp_ieee_underflow 0
		.amdhsa_exception_fp_ieee_inexact 0
		.amdhsa_exception_int_div_zero 0
	.end_amdhsa_kernel
	.section	.text._ZN2at6native12_GLOBAL__N_128conv_depthwise3d_cuda_kernelIN3c108BFloat16EfLin1ELin1ELin1ELi1ELi1ELi1EEEvN5torch10headeronly6detail27GenericPackedTensorAccessorINS7_14TensorAccessorINS3_8ArrayRefIlEEKT_Lm4ENS6_16DefaultPtrTraitsEiEENS_6detail16IndexBoundsCheckILm5EiEESD_Lm5ESE_iEENS8_INS9_ISB_SC_Lm4ESE_iEESI_SC_Lm5ESE_iEESJ_PSD_iiiiiiiii,"axG",@progbits,_ZN2at6native12_GLOBAL__N_128conv_depthwise3d_cuda_kernelIN3c108BFloat16EfLin1ELin1ELin1ELi1ELi1ELi1EEEvN5torch10headeronly6detail27GenericPackedTensorAccessorINS7_14TensorAccessorINS3_8ArrayRefIlEEKT_Lm4ENS6_16DefaultPtrTraitsEiEENS_6detail16IndexBoundsCheckILm5EiEESD_Lm5ESE_iEENS8_INS9_ISB_SC_Lm4ESE_iEESI_SC_Lm5ESE_iEESJ_PSD_iiiiiiiii,comdat
.Lfunc_end10:
	.size	_ZN2at6native12_GLOBAL__N_128conv_depthwise3d_cuda_kernelIN3c108BFloat16EfLin1ELin1ELin1ELi1ELi1ELi1EEEvN5torch10headeronly6detail27GenericPackedTensorAccessorINS7_14TensorAccessorINS3_8ArrayRefIlEEKT_Lm4ENS6_16DefaultPtrTraitsEiEENS_6detail16IndexBoundsCheckILm5EiEESD_Lm5ESE_iEENS8_INS9_ISB_SC_Lm4ESE_iEESI_SC_Lm5ESE_iEESJ_PSD_iiiiiiiii, .Lfunc_end10-_ZN2at6native12_GLOBAL__N_128conv_depthwise3d_cuda_kernelIN3c108BFloat16EfLin1ELin1ELin1ELi1ELi1ELi1EEEvN5torch10headeronly6detail27GenericPackedTensorAccessorINS7_14TensorAccessorINS3_8ArrayRefIlEEKT_Lm4ENS6_16DefaultPtrTraitsEiEENS_6detail16IndexBoundsCheckILm5EiEESD_Lm5ESE_iEENS8_INS9_ISB_SC_Lm4ESE_iEESI_SC_Lm5ESE_iEESJ_PSD_iiiiiiiii
                                        ; -- End function
	.set _ZN2at6native12_GLOBAL__N_128conv_depthwise3d_cuda_kernelIN3c108BFloat16EfLin1ELin1ELin1ELi1ELi1ELi1EEEvN5torch10headeronly6detail27GenericPackedTensorAccessorINS7_14TensorAccessorINS3_8ArrayRefIlEEKT_Lm4ENS6_16DefaultPtrTraitsEiEENS_6detail16IndexBoundsCheckILm5EiEESD_Lm5ESE_iEENS8_INS9_ISB_SC_Lm4ESE_iEESI_SC_Lm5ESE_iEESJ_PSD_iiiiiiiii.num_vgpr, 31
	.set _ZN2at6native12_GLOBAL__N_128conv_depthwise3d_cuda_kernelIN3c108BFloat16EfLin1ELin1ELin1ELi1ELi1ELi1EEEvN5torch10headeronly6detail27GenericPackedTensorAccessorINS7_14TensorAccessorINS3_8ArrayRefIlEEKT_Lm4ENS6_16DefaultPtrTraitsEiEENS_6detail16IndexBoundsCheckILm5EiEESD_Lm5ESE_iEENS8_INS9_ISB_SC_Lm4ESE_iEESI_SC_Lm5ESE_iEESJ_PSD_iiiiiiiii.num_agpr, 0
	.set _ZN2at6native12_GLOBAL__N_128conv_depthwise3d_cuda_kernelIN3c108BFloat16EfLin1ELin1ELin1ELi1ELi1ELi1EEEvN5torch10headeronly6detail27GenericPackedTensorAccessorINS7_14TensorAccessorINS3_8ArrayRefIlEEKT_Lm4ENS6_16DefaultPtrTraitsEiEENS_6detail16IndexBoundsCheckILm5EiEESD_Lm5ESE_iEENS8_INS9_ISB_SC_Lm4ESE_iEESI_SC_Lm5ESE_iEESJ_PSD_iiiiiiiii.numbered_sgpr, 66
	.set _ZN2at6native12_GLOBAL__N_128conv_depthwise3d_cuda_kernelIN3c108BFloat16EfLin1ELin1ELin1ELi1ELi1ELi1EEEvN5torch10headeronly6detail27GenericPackedTensorAccessorINS7_14TensorAccessorINS3_8ArrayRefIlEEKT_Lm4ENS6_16DefaultPtrTraitsEiEENS_6detail16IndexBoundsCheckILm5EiEESD_Lm5ESE_iEENS8_INS9_ISB_SC_Lm4ESE_iEESI_SC_Lm5ESE_iEESJ_PSD_iiiiiiiii.num_named_barrier, 0
	.set _ZN2at6native12_GLOBAL__N_128conv_depthwise3d_cuda_kernelIN3c108BFloat16EfLin1ELin1ELin1ELi1ELi1ELi1EEEvN5torch10headeronly6detail27GenericPackedTensorAccessorINS7_14TensorAccessorINS3_8ArrayRefIlEEKT_Lm4ENS6_16DefaultPtrTraitsEiEENS_6detail16IndexBoundsCheckILm5EiEESD_Lm5ESE_iEENS8_INS9_ISB_SC_Lm4ESE_iEESI_SC_Lm5ESE_iEESJ_PSD_iiiiiiiii.private_seg_size, 0
	.set _ZN2at6native12_GLOBAL__N_128conv_depthwise3d_cuda_kernelIN3c108BFloat16EfLin1ELin1ELin1ELi1ELi1ELi1EEEvN5torch10headeronly6detail27GenericPackedTensorAccessorINS7_14TensorAccessorINS3_8ArrayRefIlEEKT_Lm4ENS6_16DefaultPtrTraitsEiEENS_6detail16IndexBoundsCheckILm5EiEESD_Lm5ESE_iEENS8_INS9_ISB_SC_Lm4ESE_iEESI_SC_Lm5ESE_iEESJ_PSD_iiiiiiiii.uses_vcc, 1
	.set _ZN2at6native12_GLOBAL__N_128conv_depthwise3d_cuda_kernelIN3c108BFloat16EfLin1ELin1ELin1ELi1ELi1ELi1EEEvN5torch10headeronly6detail27GenericPackedTensorAccessorINS7_14TensorAccessorINS3_8ArrayRefIlEEKT_Lm4ENS6_16DefaultPtrTraitsEiEENS_6detail16IndexBoundsCheckILm5EiEESD_Lm5ESE_iEENS8_INS9_ISB_SC_Lm4ESE_iEESI_SC_Lm5ESE_iEESJ_PSD_iiiiiiiii.uses_flat_scratch, 0
	.set _ZN2at6native12_GLOBAL__N_128conv_depthwise3d_cuda_kernelIN3c108BFloat16EfLin1ELin1ELin1ELi1ELi1ELi1EEEvN5torch10headeronly6detail27GenericPackedTensorAccessorINS7_14TensorAccessorINS3_8ArrayRefIlEEKT_Lm4ENS6_16DefaultPtrTraitsEiEENS_6detail16IndexBoundsCheckILm5EiEESD_Lm5ESE_iEENS8_INS9_ISB_SC_Lm4ESE_iEESI_SC_Lm5ESE_iEESJ_PSD_iiiiiiiii.has_dyn_sized_stack, 0
	.set _ZN2at6native12_GLOBAL__N_128conv_depthwise3d_cuda_kernelIN3c108BFloat16EfLin1ELin1ELin1ELi1ELi1ELi1EEEvN5torch10headeronly6detail27GenericPackedTensorAccessorINS7_14TensorAccessorINS3_8ArrayRefIlEEKT_Lm4ENS6_16DefaultPtrTraitsEiEENS_6detail16IndexBoundsCheckILm5EiEESD_Lm5ESE_iEENS8_INS9_ISB_SC_Lm4ESE_iEESI_SC_Lm5ESE_iEESJ_PSD_iiiiiiiii.has_recursion, 0
	.set _ZN2at6native12_GLOBAL__N_128conv_depthwise3d_cuda_kernelIN3c108BFloat16EfLin1ELin1ELin1ELi1ELi1ELi1EEEvN5torch10headeronly6detail27GenericPackedTensorAccessorINS7_14TensorAccessorINS3_8ArrayRefIlEEKT_Lm4ENS6_16DefaultPtrTraitsEiEENS_6detail16IndexBoundsCheckILm5EiEESD_Lm5ESE_iEENS8_INS9_ISB_SC_Lm4ESE_iEESI_SC_Lm5ESE_iEESJ_PSD_iiiiiiiii.has_indirect_call, 0
	.section	.AMDGPU.csdata,"",@progbits
; Kernel info:
; codeLenInByte = 2052
; TotalNumSgprs: 68
; NumVgprs: 31
; ScratchSize: 0
; MemoryBound: 0
; FloatMode: 240
; IeeeMode: 1
; LDSByteSize: 0 bytes/workgroup (compile time only)
; SGPRBlocks: 0
; VGPRBlocks: 3
; NumSGPRsForWavesPerEU: 68
; NumVGPRsForWavesPerEU: 31
; Occupancy: 16
; WaveLimiterHint : 0
; COMPUTE_PGM_RSRC2:SCRATCH_EN: 0
; COMPUTE_PGM_RSRC2:USER_SGPR: 6
; COMPUTE_PGM_RSRC2:TRAP_HANDLER: 0
; COMPUTE_PGM_RSRC2:TGID_X_EN: 1
; COMPUTE_PGM_RSRC2:TGID_Y_EN: 0
; COMPUTE_PGM_RSRC2:TGID_Z_EN: 0
; COMPUTE_PGM_RSRC2:TIDIG_COMP_CNT: 0
	.section	.text._ZN2at6native12_GLOBAL__N_128conv_depthwise3d_cuda_kernelIN3c108BFloat16EfLin1ELin1ELin1ELin1ELin1ELin1EEEvN5torch10headeronly6detail27GenericPackedTensorAccessorINS7_14TensorAccessorINS3_8ArrayRefIlEEKT_Lm4ENS6_16DefaultPtrTraitsEiEENS_6detail16IndexBoundsCheckILm5EiEESD_Lm5ESE_iEENS8_INS9_ISB_SC_Lm4ESE_iEESI_SC_Lm5ESE_iEESJ_PSD_iiiiiiiii,"axG",@progbits,_ZN2at6native12_GLOBAL__N_128conv_depthwise3d_cuda_kernelIN3c108BFloat16EfLin1ELin1ELin1ELin1ELin1ELin1EEEvN5torch10headeronly6detail27GenericPackedTensorAccessorINS7_14TensorAccessorINS3_8ArrayRefIlEEKT_Lm4ENS6_16DefaultPtrTraitsEiEENS_6detail16IndexBoundsCheckILm5EiEESD_Lm5ESE_iEENS8_INS9_ISB_SC_Lm4ESE_iEESI_SC_Lm5ESE_iEESJ_PSD_iiiiiiiii,comdat
	.globl	_ZN2at6native12_GLOBAL__N_128conv_depthwise3d_cuda_kernelIN3c108BFloat16EfLin1ELin1ELin1ELin1ELin1ELin1EEEvN5torch10headeronly6detail27GenericPackedTensorAccessorINS7_14TensorAccessorINS3_8ArrayRefIlEEKT_Lm4ENS6_16DefaultPtrTraitsEiEENS_6detail16IndexBoundsCheckILm5EiEESD_Lm5ESE_iEENS8_INS9_ISB_SC_Lm4ESE_iEESI_SC_Lm5ESE_iEESJ_PSD_iiiiiiiii ; -- Begin function _ZN2at6native12_GLOBAL__N_128conv_depthwise3d_cuda_kernelIN3c108BFloat16EfLin1ELin1ELin1ELin1ELin1ELin1EEEvN5torch10headeronly6detail27GenericPackedTensorAccessorINS7_14TensorAccessorINS3_8ArrayRefIlEEKT_Lm4ENS6_16DefaultPtrTraitsEiEENS_6detail16IndexBoundsCheckILm5EiEESD_Lm5ESE_iEENS8_INS9_ISB_SC_Lm4ESE_iEESI_SC_Lm5ESE_iEESJ_PSD_iiiiiiiii
	.p2align	8
	.type	_ZN2at6native12_GLOBAL__N_128conv_depthwise3d_cuda_kernelIN3c108BFloat16EfLin1ELin1ELin1ELin1ELin1ELin1EEEvN5torch10headeronly6detail27GenericPackedTensorAccessorINS7_14TensorAccessorINS3_8ArrayRefIlEEKT_Lm4ENS6_16DefaultPtrTraitsEiEENS_6detail16IndexBoundsCheckILm5EiEESD_Lm5ESE_iEENS8_INS9_ISB_SC_Lm4ESE_iEESI_SC_Lm5ESE_iEESJ_PSD_iiiiiiiii,@function
_ZN2at6native12_GLOBAL__N_128conv_depthwise3d_cuda_kernelIN3c108BFloat16EfLin1ELin1ELin1ELin1ELin1ELin1EEEvN5torch10headeronly6detail27GenericPackedTensorAccessorINS7_14TensorAccessorINS3_8ArrayRefIlEEKT_Lm4ENS6_16DefaultPtrTraitsEiEENS_6detail16IndexBoundsCheckILm5EiEESD_Lm5ESE_iEENS8_INS9_ISB_SC_Lm4ESE_iEESI_SC_Lm5ESE_iEESJ_PSD_iiiiiiiii: ; @_ZN2at6native12_GLOBAL__N_128conv_depthwise3d_cuda_kernelIN3c108BFloat16EfLin1ELin1ELin1ELin1ELin1ELin1EEEvN5torch10headeronly6detail27GenericPackedTensorAccessorINS7_14TensorAccessorINS3_8ArrayRefIlEEKT_Lm4ENS6_16DefaultPtrTraitsEiEENS_6detail16IndexBoundsCheckILm5EiEESD_Lm5ESE_iEENS8_INS9_ISB_SC_Lm4ESE_iEESI_SC_Lm5ESE_iEESJ_PSD_iiiiiiiii
; %bb.0:
	s_clause 0x3
	s_load_dwordx4 s[16:19], s[4:5], 0xc
	s_load_dword s3, s[4:5], 0xcc
	s_load_dwordx4 s[20:23], s[4:5], 0x38
	s_load_dwordx2 s[34:35], s[4:5], 0x48
	s_waitcnt lgkmcnt(0)
	s_abs_i32 s2, s16
	s_add_u32 s0, s4, 0xc0
	v_cvt_f32_u32_e32 v1, s2
	s_addc_u32 s1, s5, 0
	s_and_b32 s48, s3, 0xffff
	s_mul_i32 s36, s35, s20
	s_ashr_i32 s37, s36, 31
	v_rcp_iflag_f32_e32 v2, v1
	v_mov_b32_e32 v1, 0
	v_mad_u64_u32 v[0:1], null, s48, s6, v[0:1]
	s_mov_b32 s6, exec_lo
	v_mul_f32_e32 v2, 0x4f7ffffe, v2
	v_cvt_u32_f32_e32 v2, v2
	v_readfirstlane_b32 s3, v2
	v_cmpx_gt_i64_e64 s[36:37], v[0:1]
	s_cbranch_execz .LBB11_17
; %bb.1:
	s_sub_i32 s6, 0, s2
	s_ashr_i32 s7, s16, 31
	s_mul_i32 s6, s6, s3
	s_abs_i32 s16, s21
	s_mul_hi_u32 s6, s3, s6
	s_clause 0x1
	s_load_dwordx4 s[24:27], s[4:5], 0x70
	s_load_dwordx2 s[40:41], s[4:5], 0x90
	s_add_i32 s3, s3, s6
	s_load_dwordx8 s[8:15], s[4:5], 0x98
	s_mul_hi_u32 s3, s16, s3
	s_ashr_i32 s20, s21, 31
	s_mul_i32 s6, s3, s2
	s_load_dword s38, s[4:5], 0xb8
	s_sub_i32 s6, s16, s6
	s_xor_b32 s7, s20, s7
	s_waitcnt lgkmcnt(0)
	s_add_i32 s27, s3, 1
	s_sub_i32 s28, s6, s2
	s_cmp_ge_u32 s6, s2
	v_cvt_f32_u32_e32 v5, s16
	s_cselect_b32 s3, s27, s3
	s_cselect_b32 s6, s28, s6
	s_add_i32 s27, s3, 1
	s_cmp_ge_u32 s6, s2
	v_rcp_iflag_f32_e32 v5, v5
	s_cselect_b32 s2, s27, s3
	s_load_dword s0, s[0:1], 0x0
	s_xor_b32 s2, s2, s7
	s_load_dword s27, s[4:5], 0x7c
	s_sub_i32 s49, s2, s7
	s_cmp_gt_i32 s24, 0
	s_mul_i32 s3, s18, s14
	s_cselect_b32 s33, -1, 0
	s_cmp_gt_i32 s25, 0
	s_mul_i32 s6, s25, s15
	s_cselect_b32 s54, -1, 0
	;; [unrolled: 3-line block ×3, first 2 shown]
	s_mul_i32 s7, s26, s38
	s_sub_i32 s3, s3, s6
	s_sub_i32 s2, s2, s7
	s_mul_i32 s52, s3, s19
	s_ashr_i32 s39, s38, 31
	s_ashr_i32 s3, s2, 31
	;; [unrolled: 1-line block ×3, first 2 shown]
	s_cmp_lg_u64 s[40:41], 0
	v_mul_f32_e32 v5, 0x4f7ffffe, v5
	s_cselect_b32 s56, -1, 0
	s_abs_i32 s57, s34
	s_abs_i32 s58, s23
	v_cvt_f32_u32_e32 v2, s57
	s_abs_i32 s60, s22
	v_cvt_f32_u32_e32 v3, s58
	v_cvt_f32_u32_e32 v4, s60
	s_abs_i32 s61, s49
	v_rcp_iflag_f32_e32 v2, v2
	v_cvt_f32_u32_e32 v6, s61
	v_rcp_iflag_f32_e32 v3, v3
	v_rcp_iflag_f32_e32 v4, v4
	s_sub_i32 s1, 0, s57
	v_cvt_u32_f32_e32 v5, v5
	v_rcp_iflag_f32_e32 v6, v6
	s_sub_i32 s6, 0, s58
	s_clause 0x3
	s_load_dwordx2 s[42:43], s[4:5], 0x0
	s_load_dwordx4 s[28:31], s[4:5], 0x1c
	s_load_dword s62, s[4:5], 0x2c
	s_load_dwordx2 s[44:45], s[4:5], 0x30
	v_mul_f32_e32 v2, 0x4f7ffffe, v2
	v_mov_b32_e32 v15, 0x7fc0
	v_mul_f32_e32 v3, 0x4f7ffffe, v3
	v_mul_f32_e32 v4, 0x4f7ffffe, v4
	s_mov_b32 s59, 0
	v_cvt_u32_f32_e32 v2, v2
	v_mul_f32_e32 v6, 0x4f7ffffe, v6
	v_cvt_u32_f32_e32 v3, v3
	v_cvt_u32_f32_e32 v4, v4
	s_waitcnt lgkmcnt(0)
	s_mul_i32 s63, s0, s48
	v_mul_lo_u32 v7, s1, v2
	v_cvt_u32_f32_e32 v6, v6
	s_sub_i32 s1, 0, s60
	v_mul_lo_u32 v8, s6, v3
	s_sub_i32 s6, 0, s16
	v_mul_lo_u32 v9, s1, v4
	s_sub_i32 s1, 0, s61
	v_mul_lo_u32 v10, s6, v5
	v_mul_lo_u32 v11, s1, v6
	s_clause 0x1
	s_load_dwordx2 s[46:47], s[4:5], 0x60
	s_load_dwordx4 s[4:7], s[4:5], 0x50
	v_mul_hi_u32 v7, v2, v7
	v_mul_hi_u32 v8, v3, v8
	s_ashr_i32 s64, s34, 31
	v_mul_hi_u32 v9, v4, v9
	s_ashr_i32 s65, s23, 31
	v_mul_hi_u32 v13, v5, v10
	v_mul_hi_u32 v14, v6, v11
	s_ashr_i32 s66, s22, 31
	v_add_nc_u32_e32 v10, v2, v7
	v_add_nc_u32_e32 v11, v3, v8
	s_ashr_i32 s67, s49, 31
	v_add_nc_u32_e32 v12, v4, v9
	s_lshl_b64 s[48:49], s[38:39], 1
	v_add_nc_u32_e32 v13, v5, v13
	v_add_nc_u32_e32 v14, v6, v14
	s_lshl_b64 s[50:51], s[2:3], 1
	s_lshl_b64 s[52:53], s[52:53], 1
	s_branch .LBB11_3
.LBB11_2:                               ;   in Loop: Header=BB11_3 Depth=1
	v_mul_lo_u32 v3, v19, s35
	s_waitcnt lgkmcnt(0)
	v_mul_lo_u32 v5, s4, v2
	v_bfe_u32 v6, v20, 16, 1
	v_mul_lo_u32 v2, s5, v18
	v_mul_lo_u32 v7, s6, v17
	;; [unrolled: 1-line block ×3, first 2 shown]
	v_cmp_o_f32_e32 vcc_lo, v20, v20
	v_add3_u32 v9, v20, v6, 0x7fff
	v_ashrrev_i32_e32 v4, 31, v3
	v_ashrrev_i32_e32 v6, 31, v5
	;; [unrolled: 1-line block ×3, first 2 shown]
	v_lshlrev_b64 v[18:19], 1, v[3:4]
	v_ashrrev_i32_e32 v3, 31, v2
	v_lshlrev_b64 v[4:5], 1, v[5:6]
	v_ashrrev_i32_e32 v17, 31, v16
	v_lshlrev_b64 v[2:3], 1, v[2:3]
	v_add_co_u32 v6, s0, s44, v18
	v_add_co_ci_u32_e64 v18, null, s45, v19, s0
	v_add_co_u32 v4, s0, v6, v4
	v_add_co_ci_u32_e64 v5, null, v18, v5, s0
	v_cndmask_b32_sdwa v6, v15, v9, vcc_lo dst_sel:DWORD dst_unused:UNUSED_PAD src0_sel:DWORD src1_sel:WORD_1
	v_add_co_u32 v9, vcc_lo, v4, v2
	v_add_co_ci_u32_e64 v18, null, v5, v3, vcc_lo
	v_lshlrev_b64 v[2:3], 1, v[7:8]
	v_add_co_u32 v0, vcc_lo, v0, s63
	v_lshlrev_b64 v[4:5], 1, v[16:17]
	v_add_co_ci_u32_e64 v1, null, 0, v1, vcc_lo
	v_add_co_u32 v2, vcc_lo, v9, v2
	v_add_co_ci_u32_e64 v3, null, v18, v3, vcc_lo
	v_cmp_le_i64_e32 vcc_lo, s[36:37], v[0:1]
	v_add_co_u32 v2, s0, v2, v4
	v_add_co_ci_u32_e64 v3, null, v3, v5, s0
	s_or_b32 s59, vcc_lo, s59
	global_store_short v[2:3], v6, off
	s_andn2_b32 exec_lo, exec_lo, s59
	s_cbranch_execz .LBB11_17
.LBB11_3:                               ; =>This Loop Header: Depth=1
                                        ;     Child Loop BB11_6 Depth 2
                                        ;       Child Loop BB11_9 Depth 3
                                        ;         Child Loop BB11_12 Depth 4
	v_sub_nc_u32_e32 v2, 0, v0
	v_max_i32_e32 v2, v0, v2
	v_mul_hi_u32 v3, v2, v10
	v_mul_lo_u32 v4, v3, s57
	v_sub_nc_u32_e32 v2, v2, v4
	v_add_nc_u32_e32 v4, 1, v3
	v_subrev_nc_u32_e32 v5, s57, v2
	v_cmp_le_u32_e32 vcc_lo, s57, v2
	v_cndmask_b32_e32 v3, v3, v4, vcc_lo
	v_cndmask_b32_e32 v2, v2, v5, vcc_lo
	v_ashrrev_i32_e32 v4, 31, v0
	v_add_nc_u32_e32 v5, 1, v3
	v_cmp_le_u32_e32 vcc_lo, s57, v2
	v_xor_b32_e32 v4, s64, v4
	v_cndmask_b32_e32 v2, v3, v5, vcc_lo
	v_xor_b32_e32 v2, v2, v4
	v_sub_nc_u32_e32 v3, v2, v4
	v_sub_nc_u32_e32 v2, 0, v3
	v_max_i32_e32 v2, v3, v2
	v_mul_hi_u32 v4, v2, v11
	v_mul_lo_u32 v5, v4, s58
	v_sub_nc_u32_e32 v2, v2, v5
	v_add_nc_u32_e32 v5, 1, v4
	v_subrev_nc_u32_e32 v6, s58, v2
	v_cmp_le_u32_e32 vcc_lo, s58, v2
	v_cndmask_b32_e32 v4, v4, v5, vcc_lo
	v_cndmask_b32_e32 v2, v2, v6, vcc_lo
	v_ashrrev_i32_e32 v5, 31, v3
	v_add_nc_u32_e32 v6, 1, v4
	v_cmp_le_u32_e32 vcc_lo, s58, v2
	v_xor_b32_e32 v5, s65, v5
	v_cndmask_b32_e32 v2, v4, v6, vcc_lo
	v_xor_b32_e32 v2, v2, v5
	v_sub_nc_u32_e32 v4, v2, v5
	;; [unrolled: 17-line block ×3, first 2 shown]
	v_sub_nc_u32_e32 v5, 0, v2
	v_max_i32_e32 v5, v2, v5
	v_mul_hi_u32 v6, v5, v13
	v_mul_lo_u32 v7, v6, s16
	v_sub_nc_u32_e32 v5, v5, v7
	v_add_nc_u32_e32 v7, 1, v6
	v_subrev_nc_u32_e32 v8, s16, v5
	v_cmp_le_u32_e32 vcc_lo, s16, v5
	v_cndmask_b32_e32 v6, v6, v7, vcc_lo
	v_cndmask_b32_e32 v5, v5, v8, vcc_lo
	v_ashrrev_i32_e32 v7, 31, v2
	v_add_nc_u32_e32 v8, 1, v6
	v_cmp_le_u32_e32 vcc_lo, s16, v5
	v_xor_b32_e32 v7, s20, v7
	v_cndmask_b32_e32 v5, v6, v8, vcc_lo
	v_mul_lo_u32 v6, v3, s34
	v_mul_lo_u32 v8, v2, s22
	s_andn2_b32 vcc_lo, exec_lo, s33
	v_xor_b32_e32 v5, v5, v7
	v_sub_nc_u32_e32 v16, v0, v6
	v_sub_nc_u32_e32 v19, v5, v7
	v_mul_lo_u32 v7, v4, s23
	v_sub_nc_u32_e32 v18, v4, v8
	v_mul_lo_u32 v5, v19, s21
	v_sub_nc_u32_e32 v17, v3, v7
	v_sub_nc_u32_e32 v2, v2, v5
	v_ashrrev_i32_e32 v3, 31, v2
	s_cbranch_vccnz .LBB11_14
; %bb.4:                                ;   in Loop: Header=BB11_3 Depth=1
	v_sub_nc_u32_e32 v4, 0, v2
	v_mul_lo_u32 v9, v17, s9
	v_mul_lo_u32 v20, v16, s10
	;; [unrolled: 1-line block ×3, first 2 shown]
	s_mov_b32 s3, 0
	v_max_i32_e32 v4, v2, v4
	v_subrev_nc_u32_e32 v21, s13, v20
	v_mul_hi_u32 v5, v4, v14
	v_mul_lo_u32 v28, s62, v21
	v_mul_lo_u32 v6, v5, s61
	v_ashrrev_i32_e32 v29, 31, v28
	v_sub_nc_u32_e32 v4, v4, v6
	v_add_nc_u32_e32 v6, 1, v5
	v_subrev_nc_u32_e32 v7, s61, v4
	v_cmp_le_u32_e32 vcc_lo, s61, v4
	v_cndmask_b32_e32 v5, v5, v6, vcc_lo
	v_cndmask_b32_e32 v4, v4, v7, vcc_lo
	v_xor_b32_e32 v7, s67, v3
	v_add_nc_u32_e32 v6, 1, v5
	v_cmp_le_u32_e32 vcc_lo, s61, v4
	v_cndmask_b32_e32 v4, v5, v6, vcc_lo
	v_mul_lo_u32 v5, v18, s8
	v_mul_lo_u32 v6, s28, v19
	v_xor_b32_e32 v4, v4, v7
	v_sub_nc_u32_e32 v7, v4, v7
	v_subrev_nc_u32_e32 v4, s11, v5
	v_subrev_nc_u32_e32 v5, s12, v9
	v_ashrrev_i32_e32 v9, 31, v8
	v_mul_lo_u32 v22, s29, v7
	v_ashrrev_i32_e32 v7, 31, v6
	v_mul_lo_u32 v24, s30, v4
	v_mul_lo_u32 v26, s31, v5
	v_lshlrev_b64 v[8:9], 1, v[8:9]
	v_lshlrev_b64 v[6:7], 1, v[6:7]
	v_ashrrev_i32_e32 v23, 31, v22
	v_ashrrev_i32_e32 v25, 31, v24
	;; [unrolled: 1-line block ×3, first 2 shown]
	v_add_co_u32 v20, vcc_lo, s42, v6
	v_lshlrev_b64 v[22:23], 1, v[22:23]
	v_add_co_ci_u32_e64 v30, null, s43, v7, vcc_lo
	v_lshlrev_b64 v[6:7], 1, v[24:25]
	v_add_co_u32 v20, vcc_lo, v20, v22
	v_add_co_ci_u32_e64 v24, null, v30, v23, vcc_lo
	v_lshlrev_b64 v[22:23], 1, v[26:27]
	v_add_co_u32 v6, vcc_lo, v20, v6
	;; [unrolled: 3-line block ×3, first 2 shown]
	v_add_co_ci_u32_e64 v22, null, v7, v23, vcc_lo
	s_waitcnt lgkmcnt(0)
	v_add_co_u32 v6, vcc_lo, s46, v8
	v_add_co_ci_u32_e64 v7, null, s47, v9, vcc_lo
	v_add_co_u32 v8, vcc_lo, v20, v24
	v_add_co_ci_u32_e64 v9, null, v22, v25, vcc_lo
	v_mov_b32_e32 v20, 0
	s_branch .LBB11_6
.LBB11_5:                               ;   in Loop: Header=BB11_6 Depth=2
	v_add_co_u32 v8, vcc_lo, v8, s52
	v_add_co_ci_u32_e64 v9, null, s53, v9, vcc_lo
	s_add_i32 s3, s3, 1
	s_cmp_eq_u32 s3, s24
	s_cbranch_scc1 .LBB11_15
.LBB11_6:                               ;   Parent Loop BB11_3 Depth=1
                                        ; =>  This Loop Header: Depth=2
                                        ;       Child Loop BB11_9 Depth 3
                                        ;         Child Loop BB11_12 Depth 4
	s_andn2_b32 vcc_lo, exec_lo, s54
	s_cbranch_vccnz .LBB11_5
; %bb.7:                                ;   in Loop: Header=BB11_6 Depth=2
	v_mad_u64_u32 v[22:23], null, s3, s14, v[4:5]
	s_mov_b32 s39, 0
	v_cmp_lt_i32_e64 s0, -1, v22
	v_cmp_gt_i32_e64 s1, s17, v22
	s_branch .LBB11_9
.LBB11_8:                               ;   in Loop: Header=BB11_9 Depth=3
	s_inst_prefetch 0x2
	v_add_co_u32 v8, vcc_lo, v8, s50
	v_add_co_ci_u32_e64 v9, null, s51, v9, vcc_lo
	s_add_i32 s39, s39, 1
	s_cmp_eq_u32 s39, s25
	s_cbranch_scc1 .LBB11_5
.LBB11_9:                               ;   Parent Loop BB11_3 Depth=1
                                        ;     Parent Loop BB11_6 Depth=2
                                        ; =>    This Loop Header: Depth=3
                                        ;         Child Loop BB11_12 Depth 4
	s_andn2_b32 vcc_lo, exec_lo, s55
	s_cbranch_vccnz .LBB11_8
; %bb.10:                               ;   in Loop: Header=BB11_9 Depth=3
	v_mad_u64_u32 v[23:24], null, s39, s15, v[5:6]
	v_mov_b32_e32 v22, v21
	s_mov_b32 s69, s26
	v_cmp_lt_i32_e64 s2, -1, v23
	v_cmp_gt_i32_e32 vcc_lo, s18, v23
	s_and_b32 s68, s0, s2
	s_inst_prefetch 0x1
	s_branch .LBB11_12
	.p2align	6
.LBB11_11:                              ;   in Loop: Header=BB11_12 Depth=4
	s_or_b32 exec_lo, exec_lo, s2
	v_add_co_u32 v6, s2, v6, 2
	v_add_co_ci_u32_e64 v7, null, 0, v7, s2
	v_add_co_u32 v8, s2, v8, s48
	v_add_nc_u32_e32 v22, s38, v22
	v_add_co_ci_u32_e64 v9, null, s49, v9, s2
	s_add_i32 s69, s69, -1
	s_cmp_eq_u32 s69, 0
	s_cbranch_scc1 .LBB11_8
.LBB11_12:                              ;   Parent Loop BB11_3 Depth=1
                                        ;     Parent Loop BB11_6 Depth=2
                                        ;       Parent Loop BB11_9 Depth=3
                                        ; =>      This Inner Loop Header: Depth=4
	v_cmp_lt_i32_e64 s2, -1, v22
	s_and_b32 s70, s68, s2
	v_cmp_gt_i32_e64 s2, s19, v22
	s_and_b32 s70, s70, s1
	s_and_b32 s70, s70, vcc_lo
	s_and_b32 s70, s70, s2
	s_and_saveexec_b32 s2, s70
	s_cbranch_execz .LBB11_11
; %bb.13:                               ;   in Loop: Header=BB11_12 Depth=4
	global_load_ushort v23, v[8:9], off
	global_load_ushort v24, v[6:7], off
	s_waitcnt vmcnt(1)
	v_lshlrev_b32_e32 v23, 16, v23
	s_waitcnt vmcnt(0)
	v_lshlrev_b32_e32 v24, 16, v24
	v_fmac_f32_e32 v20, v24, v23
	s_branch .LBB11_11
.LBB11_14:                              ;   in Loop: Header=BB11_3 Depth=1
	v_mov_b32_e32 v20, 0
.LBB11_15:                              ;   in Loop: Header=BB11_3 Depth=1
	s_and_b32 vcc_lo, exec_lo, s56
	s_cbranch_vccz .LBB11_2
; %bb.16:                               ;   in Loop: Header=BB11_3 Depth=1
	v_lshlrev_b64 v[3:4], 1, v[2:3]
	v_add_co_u32 v3, vcc_lo, s40, v3
	v_add_co_ci_u32_e64 v4, null, s41, v4, vcc_lo
	global_load_ushort v3, v[3:4], off
	s_waitcnt vmcnt(0)
	v_lshlrev_b32_e32 v3, 16, v3
	v_add_f32_e32 v20, v20, v3
	s_branch .LBB11_2
.LBB11_17:
	s_endpgm
	.section	.rodata,"a",@progbits
	.p2align	6, 0x0
	.amdhsa_kernel _ZN2at6native12_GLOBAL__N_128conv_depthwise3d_cuda_kernelIN3c108BFloat16EfLin1ELin1ELin1ELin1ELin1ELin1EEEvN5torch10headeronly6detail27GenericPackedTensorAccessorINS7_14TensorAccessorINS3_8ArrayRefIlEEKT_Lm4ENS6_16DefaultPtrTraitsEiEENS_6detail16IndexBoundsCheckILm5EiEESD_Lm5ESE_iEENS8_INS9_ISB_SC_Lm4ESE_iEESI_SC_Lm5ESE_iEESJ_PSD_iiiiiiiii
		.amdhsa_group_segment_fixed_size 0
		.amdhsa_private_segment_fixed_size 0
		.amdhsa_kernarg_size 448
		.amdhsa_user_sgpr_count 6
		.amdhsa_user_sgpr_private_segment_buffer 1
		.amdhsa_user_sgpr_dispatch_ptr 0
		.amdhsa_user_sgpr_queue_ptr 0
		.amdhsa_user_sgpr_kernarg_segment_ptr 1
		.amdhsa_user_sgpr_dispatch_id 0
		.amdhsa_user_sgpr_flat_scratch_init 0
		.amdhsa_user_sgpr_private_segment_size 0
		.amdhsa_wavefront_size32 1
		.amdhsa_uses_dynamic_stack 0
		.amdhsa_system_sgpr_private_segment_wavefront_offset 0
		.amdhsa_system_sgpr_workgroup_id_x 1
		.amdhsa_system_sgpr_workgroup_id_y 0
		.amdhsa_system_sgpr_workgroup_id_z 0
		.amdhsa_system_sgpr_workgroup_info 0
		.amdhsa_system_vgpr_workitem_id 0
		.amdhsa_next_free_vgpr 31
		.amdhsa_next_free_sgpr 71
		.amdhsa_reserve_vcc 1
		.amdhsa_reserve_flat_scratch 0
		.amdhsa_float_round_mode_32 0
		.amdhsa_float_round_mode_16_64 0
		.amdhsa_float_denorm_mode_32 3
		.amdhsa_float_denorm_mode_16_64 3
		.amdhsa_dx10_clamp 1
		.amdhsa_ieee_mode 1
		.amdhsa_fp16_overflow 0
		.amdhsa_workgroup_processor_mode 1
		.amdhsa_memory_ordered 1
		.amdhsa_forward_progress 1
		.amdhsa_shared_vgpr_count 0
		.amdhsa_exception_fp_ieee_invalid_op 0
		.amdhsa_exception_fp_denorm_src 0
		.amdhsa_exception_fp_ieee_div_zero 0
		.amdhsa_exception_fp_ieee_overflow 0
		.amdhsa_exception_fp_ieee_underflow 0
		.amdhsa_exception_fp_ieee_inexact 0
		.amdhsa_exception_int_div_zero 0
	.end_amdhsa_kernel
	.section	.text._ZN2at6native12_GLOBAL__N_128conv_depthwise3d_cuda_kernelIN3c108BFloat16EfLin1ELin1ELin1ELin1ELin1ELin1EEEvN5torch10headeronly6detail27GenericPackedTensorAccessorINS7_14TensorAccessorINS3_8ArrayRefIlEEKT_Lm4ENS6_16DefaultPtrTraitsEiEENS_6detail16IndexBoundsCheckILm5EiEESD_Lm5ESE_iEENS8_INS9_ISB_SC_Lm4ESE_iEESI_SC_Lm5ESE_iEESJ_PSD_iiiiiiiii,"axG",@progbits,_ZN2at6native12_GLOBAL__N_128conv_depthwise3d_cuda_kernelIN3c108BFloat16EfLin1ELin1ELin1ELin1ELin1ELin1EEEvN5torch10headeronly6detail27GenericPackedTensorAccessorINS7_14TensorAccessorINS3_8ArrayRefIlEEKT_Lm4ENS6_16DefaultPtrTraitsEiEENS_6detail16IndexBoundsCheckILm5EiEESD_Lm5ESE_iEENS8_INS9_ISB_SC_Lm4ESE_iEESI_SC_Lm5ESE_iEESJ_PSD_iiiiiiiii,comdat
.Lfunc_end11:
	.size	_ZN2at6native12_GLOBAL__N_128conv_depthwise3d_cuda_kernelIN3c108BFloat16EfLin1ELin1ELin1ELin1ELin1ELin1EEEvN5torch10headeronly6detail27GenericPackedTensorAccessorINS7_14TensorAccessorINS3_8ArrayRefIlEEKT_Lm4ENS6_16DefaultPtrTraitsEiEENS_6detail16IndexBoundsCheckILm5EiEESD_Lm5ESE_iEENS8_INS9_ISB_SC_Lm4ESE_iEESI_SC_Lm5ESE_iEESJ_PSD_iiiiiiiii, .Lfunc_end11-_ZN2at6native12_GLOBAL__N_128conv_depthwise3d_cuda_kernelIN3c108BFloat16EfLin1ELin1ELin1ELin1ELin1ELin1EEEvN5torch10headeronly6detail27GenericPackedTensorAccessorINS7_14TensorAccessorINS3_8ArrayRefIlEEKT_Lm4ENS6_16DefaultPtrTraitsEiEENS_6detail16IndexBoundsCheckILm5EiEESD_Lm5ESE_iEENS8_INS9_ISB_SC_Lm4ESE_iEESI_SC_Lm5ESE_iEESJ_PSD_iiiiiiiii
                                        ; -- End function
	.set _ZN2at6native12_GLOBAL__N_128conv_depthwise3d_cuda_kernelIN3c108BFloat16EfLin1ELin1ELin1ELin1ELin1ELin1EEEvN5torch10headeronly6detail27GenericPackedTensorAccessorINS7_14TensorAccessorINS3_8ArrayRefIlEEKT_Lm4ENS6_16DefaultPtrTraitsEiEENS_6detail16IndexBoundsCheckILm5EiEESD_Lm5ESE_iEENS8_INS9_ISB_SC_Lm4ESE_iEESI_SC_Lm5ESE_iEESJ_PSD_iiiiiiiii.num_vgpr, 31
	.set _ZN2at6native12_GLOBAL__N_128conv_depthwise3d_cuda_kernelIN3c108BFloat16EfLin1ELin1ELin1ELin1ELin1ELin1EEEvN5torch10headeronly6detail27GenericPackedTensorAccessorINS7_14TensorAccessorINS3_8ArrayRefIlEEKT_Lm4ENS6_16DefaultPtrTraitsEiEENS_6detail16IndexBoundsCheckILm5EiEESD_Lm5ESE_iEENS8_INS9_ISB_SC_Lm4ESE_iEESI_SC_Lm5ESE_iEESJ_PSD_iiiiiiiii.num_agpr, 0
	.set _ZN2at6native12_GLOBAL__N_128conv_depthwise3d_cuda_kernelIN3c108BFloat16EfLin1ELin1ELin1ELin1ELin1ELin1EEEvN5torch10headeronly6detail27GenericPackedTensorAccessorINS7_14TensorAccessorINS3_8ArrayRefIlEEKT_Lm4ENS6_16DefaultPtrTraitsEiEENS_6detail16IndexBoundsCheckILm5EiEESD_Lm5ESE_iEENS8_INS9_ISB_SC_Lm4ESE_iEESI_SC_Lm5ESE_iEESJ_PSD_iiiiiiiii.numbered_sgpr, 71
	.set _ZN2at6native12_GLOBAL__N_128conv_depthwise3d_cuda_kernelIN3c108BFloat16EfLin1ELin1ELin1ELin1ELin1ELin1EEEvN5torch10headeronly6detail27GenericPackedTensorAccessorINS7_14TensorAccessorINS3_8ArrayRefIlEEKT_Lm4ENS6_16DefaultPtrTraitsEiEENS_6detail16IndexBoundsCheckILm5EiEESD_Lm5ESE_iEENS8_INS9_ISB_SC_Lm4ESE_iEESI_SC_Lm5ESE_iEESJ_PSD_iiiiiiiii.num_named_barrier, 0
	.set _ZN2at6native12_GLOBAL__N_128conv_depthwise3d_cuda_kernelIN3c108BFloat16EfLin1ELin1ELin1ELin1ELin1ELin1EEEvN5torch10headeronly6detail27GenericPackedTensorAccessorINS7_14TensorAccessorINS3_8ArrayRefIlEEKT_Lm4ENS6_16DefaultPtrTraitsEiEENS_6detail16IndexBoundsCheckILm5EiEESD_Lm5ESE_iEENS8_INS9_ISB_SC_Lm4ESE_iEESI_SC_Lm5ESE_iEESJ_PSD_iiiiiiiii.private_seg_size, 0
	.set _ZN2at6native12_GLOBAL__N_128conv_depthwise3d_cuda_kernelIN3c108BFloat16EfLin1ELin1ELin1ELin1ELin1ELin1EEEvN5torch10headeronly6detail27GenericPackedTensorAccessorINS7_14TensorAccessorINS3_8ArrayRefIlEEKT_Lm4ENS6_16DefaultPtrTraitsEiEENS_6detail16IndexBoundsCheckILm5EiEESD_Lm5ESE_iEENS8_INS9_ISB_SC_Lm4ESE_iEESI_SC_Lm5ESE_iEESJ_PSD_iiiiiiiii.uses_vcc, 1
	.set _ZN2at6native12_GLOBAL__N_128conv_depthwise3d_cuda_kernelIN3c108BFloat16EfLin1ELin1ELin1ELin1ELin1ELin1EEEvN5torch10headeronly6detail27GenericPackedTensorAccessorINS7_14TensorAccessorINS3_8ArrayRefIlEEKT_Lm4ENS6_16DefaultPtrTraitsEiEENS_6detail16IndexBoundsCheckILm5EiEESD_Lm5ESE_iEENS8_INS9_ISB_SC_Lm4ESE_iEESI_SC_Lm5ESE_iEESJ_PSD_iiiiiiiii.uses_flat_scratch, 0
	.set _ZN2at6native12_GLOBAL__N_128conv_depthwise3d_cuda_kernelIN3c108BFloat16EfLin1ELin1ELin1ELin1ELin1ELin1EEEvN5torch10headeronly6detail27GenericPackedTensorAccessorINS7_14TensorAccessorINS3_8ArrayRefIlEEKT_Lm4ENS6_16DefaultPtrTraitsEiEENS_6detail16IndexBoundsCheckILm5EiEESD_Lm5ESE_iEENS8_INS9_ISB_SC_Lm4ESE_iEESI_SC_Lm5ESE_iEESJ_PSD_iiiiiiiii.has_dyn_sized_stack, 0
	.set _ZN2at6native12_GLOBAL__N_128conv_depthwise3d_cuda_kernelIN3c108BFloat16EfLin1ELin1ELin1ELin1ELin1ELin1EEEvN5torch10headeronly6detail27GenericPackedTensorAccessorINS7_14TensorAccessorINS3_8ArrayRefIlEEKT_Lm4ENS6_16DefaultPtrTraitsEiEENS_6detail16IndexBoundsCheckILm5EiEESD_Lm5ESE_iEENS8_INS9_ISB_SC_Lm4ESE_iEESI_SC_Lm5ESE_iEESJ_PSD_iiiiiiiii.has_recursion, 0
	.set _ZN2at6native12_GLOBAL__N_128conv_depthwise3d_cuda_kernelIN3c108BFloat16EfLin1ELin1ELin1ELin1ELin1ELin1EEEvN5torch10headeronly6detail27GenericPackedTensorAccessorINS7_14TensorAccessorINS3_8ArrayRefIlEEKT_Lm4ENS6_16DefaultPtrTraitsEiEENS_6detail16IndexBoundsCheckILm5EiEESD_Lm5ESE_iEENS8_INS9_ISB_SC_Lm4ESE_iEESI_SC_Lm5ESE_iEESJ_PSD_iiiiiiiii.has_indirect_call, 0
	.section	.AMDGPU.csdata,"",@progbits
; Kernel info:
; codeLenInByte = 1988
; TotalNumSgprs: 73
; NumVgprs: 31
; ScratchSize: 0
; MemoryBound: 0
; FloatMode: 240
; IeeeMode: 1
; LDSByteSize: 0 bytes/workgroup (compile time only)
; SGPRBlocks: 0
; VGPRBlocks: 3
; NumSGPRsForWavesPerEU: 73
; NumVGPRsForWavesPerEU: 31
; Occupancy: 16
; WaveLimiterHint : 0
; COMPUTE_PGM_RSRC2:SCRATCH_EN: 0
; COMPUTE_PGM_RSRC2:USER_SGPR: 6
; COMPUTE_PGM_RSRC2:TRAP_HANDLER: 0
; COMPUTE_PGM_RSRC2:TGID_X_EN: 1
; COMPUTE_PGM_RSRC2:TGID_Y_EN: 0
; COMPUTE_PGM_RSRC2:TGID_Z_EN: 0
; COMPUTE_PGM_RSRC2:TIDIG_COMP_CNT: 0
	.section	.text._ZN2at6native12_GLOBAL__N_143conv_depthwise3d_cuda_backward_input_kernelIddLi3ELi3ELi3ELi1ELi1ELi1ELi1ELi1ELi1EEEvN5torch10headeronly6detail27GenericPackedTensorAccessorINS5_14TensorAccessorIN3c108ArrayRefIlEEKT_Lm4ENS4_16DefaultPtrTraitsEiEENS_6detail16IndexBoundsCheckILm5EiEESC_Lm5ESD_iEENS6_INS7_ISA_SB_Lm4ESD_iEESH_SB_Lm5ESD_iEESI_iiiiiiiii,"axG",@progbits,_ZN2at6native12_GLOBAL__N_143conv_depthwise3d_cuda_backward_input_kernelIddLi3ELi3ELi3ELi1ELi1ELi1ELi1ELi1ELi1EEEvN5torch10headeronly6detail27GenericPackedTensorAccessorINS5_14TensorAccessorIN3c108ArrayRefIlEEKT_Lm4ENS4_16DefaultPtrTraitsEiEENS_6detail16IndexBoundsCheckILm5EiEESC_Lm5ESD_iEENS6_INS7_ISA_SB_Lm4ESD_iEESH_SB_Lm5ESD_iEESI_iiiiiiiii,comdat
	.globl	_ZN2at6native12_GLOBAL__N_143conv_depthwise3d_cuda_backward_input_kernelIddLi3ELi3ELi3ELi1ELi1ELi1ELi1ELi1ELi1EEEvN5torch10headeronly6detail27GenericPackedTensorAccessorINS5_14TensorAccessorIN3c108ArrayRefIlEEKT_Lm4ENS4_16DefaultPtrTraitsEiEENS_6detail16IndexBoundsCheckILm5EiEESC_Lm5ESD_iEENS6_INS7_ISA_SB_Lm4ESD_iEESH_SB_Lm5ESD_iEESI_iiiiiiiii ; -- Begin function _ZN2at6native12_GLOBAL__N_143conv_depthwise3d_cuda_backward_input_kernelIddLi3ELi3ELi3ELi1ELi1ELi1ELi1ELi1ELi1EEEvN5torch10headeronly6detail27GenericPackedTensorAccessorINS5_14TensorAccessorIN3c108ArrayRefIlEEKT_Lm4ENS4_16DefaultPtrTraitsEiEENS_6detail16IndexBoundsCheckILm5EiEESC_Lm5ESD_iEENS6_INS7_ISA_SB_Lm4ESD_iEESH_SB_Lm5ESD_iEESI_iiiiiiiii
	.p2align	8
	.type	_ZN2at6native12_GLOBAL__N_143conv_depthwise3d_cuda_backward_input_kernelIddLi3ELi3ELi3ELi1ELi1ELi1ELi1ELi1ELi1EEEvN5torch10headeronly6detail27GenericPackedTensorAccessorINS5_14TensorAccessorIN3c108ArrayRefIlEEKT_Lm4ENS4_16DefaultPtrTraitsEiEENS_6detail16IndexBoundsCheckILm5EiEESC_Lm5ESD_iEENS6_INS7_ISA_SB_Lm4ESD_iEESH_SB_Lm5ESD_iEESI_iiiiiiiii,@function
_ZN2at6native12_GLOBAL__N_143conv_depthwise3d_cuda_backward_input_kernelIddLi3ELi3ELi3ELi1ELi1ELi1ELi1ELi1ELi1EEEvN5torch10headeronly6detail27GenericPackedTensorAccessorINS5_14TensorAccessorIN3c108ArrayRefIlEEKT_Lm4ENS4_16DefaultPtrTraitsEiEENS_6detail16IndexBoundsCheckILm5EiEESC_Lm5ESD_iEENS6_INS7_ISA_SB_Lm4ESD_iEESH_SB_Lm5ESD_iEESI_iiiiiiiii: ; @_ZN2at6native12_GLOBAL__N_143conv_depthwise3d_cuda_backward_input_kernelIddLi3ELi3ELi3ELi1ELi1ELi1ELi1ELi1ELi1EEEvN5torch10headeronly6detail27GenericPackedTensorAccessorINS5_14TensorAccessorIN3c108ArrayRefIlEEKT_Lm4ENS4_16DefaultPtrTraitsEiEENS_6detail16IndexBoundsCheckILm5EiEESC_Lm5ESD_iEENS6_INS7_ISA_SB_Lm4ESD_iEESH_SB_Lm5ESD_iEESI_iiiiiiiii
; %bb.0:
	s_mov_b64 s[74:75], s[2:3]
	s_mov_b64 s[72:73], s[0:1]
	s_clause 0x2
	s_load_dwordx4 s[8:11], s[4:5], 0x38
	s_load_dword s2, s[4:5], 0xc4
	s_load_dwordx2 s[24:25], s[4:5], 0x48
	s_add_u32 s72, s72, s7
	s_addc_u32 s73, s73, 0
	s_waitcnt lgkmcnt(0)
	s_abs_i32 s33, s9
	s_add_u32 s0, s4, 0xb8
	v_cvt_f32_u32_e32 v1, s33
	s_addc_u32 s1, s5, 0
	s_and_b32 s2, s2, 0xffff
	v_rcp_iflag_f32_e32 v2, v1
	v_mov_b32_e32 v1, 0
	v_mad_u64_u32 v[14:15], null, s2, s6, v[0:1]
	s_mul_i32 s6, s25, s8
	s_mov_b32 s8, exec_lo
	v_mul_f32_e32 v2, 0x4f7ffffe, v2
	s_ashr_i32 s7, s6, 31
	v_cvt_u32_f32_e32 v0, v2
	v_readfirstlane_b32 s3, v0
	v_cmpx_gt_i64_e64 s[6:7], v[14:15]
	s_cbranch_execz .LBB12_62
; %bb.1:
	s_clause 0x1
	s_load_dwordx4 s[12:15], s[4:5], 0xc
	s_load_dwordx2 s[26:27], s[4:5], 0x0
	s_sub_i32 s20, 0, s33
	s_mul_i32 s8, s20, s3
	v_mul_lo_u32 v4, s20, v0
	s_mul_hi_u32 s8, s3, s8
	s_add_i32 s3, s3, s8
	s_ashr_i32 s8, s9, 31
	v_mul_hi_u32 v4, v0, v4
	s_waitcnt lgkmcnt(0)
	s_abs_i32 s16, s12
	s_ashr_i32 s12, s12, 31
	s_mul_hi_u32 s3, s16, s3
	s_xor_b32 s12, s12, s8
	s_mul_i32 s17, s3, s33
	v_add_nc_u32_e32 v0, v0, v4
	s_sub_i32 s16, s16, s17
	s_add_i32 s17, s3, 1
	s_sub_i32 s18, s16, s33
	s_cmp_ge_u32 s16, s33
	s_cselect_b32 s3, s17, s3
	s_cselect_b32 s16, s18, s16
	s_add_i32 s17, s3, 1
	s_cmp_ge_u32 s16, s33
	s_cselect_b32 s3, s17, s3
	s_load_dword s0, s[0:1], 0x0
	s_load_dwordx4 s[16:19], s[4:5], 0x9c
	s_xor_b32 s3, s3, s12
	s_waitcnt lgkmcnt(0)
	s_clause 0x2
	s_load_dword s19, s[4:5], 0x7c
	s_load_dwordx2 s[28:29], s[4:5], 0x1c
	s_load_dwordx2 s[30:31], s[4:5], 0x30
	s_sub_i32 s12, s3, s12
	s_cmp_gt_i32 s12, 0
	s_cselect_b32 s36, -1, 0
	s_abs_i32 s37, s24
	s_abs_i32 s38, s11
	v_cvt_f32_u32_e32 v1, s37
	v_cvt_f32_u32_e32 v2, s38
	s_abs_i32 s39, s10
	s_sub_i32 s1, 0, s37
	v_cvt_f32_u32_e32 v3, s39
	v_rcp_iflag_f32_e32 v1, v1
	v_rcp_iflag_f32_e32 v2, v2
	s_sub_i32 s3, 0, s38
	s_sub_i32 s20, 0, s39
	v_rcp_iflag_f32_e32 v3, v3
	s_mul_i32 s40, s0, s2
	s_ashr_i32 s41, s24, 31
	s_ashr_i32 s42, s11, 31
	;; [unrolled: 1-line block ×3, first 2 shown]
	s_waitcnt lgkmcnt(0)
	s_mul_i32 s44, s29, s12
	v_mul_f32_e32 v1, 0x4f7ffffe, v1
	v_mul_f32_e32 v2, 0x4f7ffffe, v2
	;; [unrolled: 1-line block ×3, first 2 shown]
	v_cvt_u32_f32_e32 v1, v1
	v_cvt_u32_f32_e32 v2, v2
	;; [unrolled: 1-line block ×3, first 2 shown]
	v_mul_lo_u32 v5, s1, v1
	v_mul_lo_u32 v6, s3, v2
	;; [unrolled: 1-line block ×3, first 2 shown]
	s_clause 0x1
	s_load_dwordx2 s[34:35], s[4:5], 0x60
	s_load_dwordx4 s[20:23], s[4:5], 0x50
	buffer_store_dword v0, off, s[72:75], 0 offset:208 ; 4-byte Folded Spill
	s_mov_b32 s5, 0
	v_mul_hi_u32 v5, v1, v5
	v_mul_hi_u32 v6, v2, v6
	;; [unrolled: 1-line block ×3, first 2 shown]
	v_add_nc_u32_e32 v0, v1, v5
	buffer_store_dword v0, off, s[72:75], 0 offset:212 ; 4-byte Folded Spill
	v_add_nc_u32_e32 v0, v2, v6
	buffer_store_dword v0, off, s[72:75], 0 offset:216 ; 4-byte Folded Spill
	;; [unrolled: 2-line block ×3, first 2 shown]
	s_branch .LBB12_4
.LBB12_2:                               ;   in Loop: Header=BB12_4 Depth=1
	s_or_b32 exec_lo, exec_lo, s4
	s_clause 0x5
	buffer_load_dword v14, off, s[72:75], 0 offset:184
	buffer_load_dword v15, off, s[72:75], 0 offset:188
	;; [unrolled: 1-line block ×6, first 2 shown]
.LBB12_3:                               ;   in Loop: Header=BB12_4 Depth=1
	s_waitcnt vmcnt(0)
	v_mul_lo_u32 v0, v8, s25
	s_waitcnt lgkmcnt(0)
	v_mul_lo_u32 v2, s20, v49
	v_mul_lo_u32 v6, s21, v1
	v_mul_lo_u32 v10, s23, v3
	v_mul_lo_u32 v8, s22, v7
	v_add_co_u32 v14, vcc_lo, v14, s40
	v_add_co_ci_u32_e64 v15, null, 0, v15, vcc_lo
	v_ashrrev_i32_e32 v1, 31, v0
	v_ashrrev_i32_e32 v3, 31, v2
	;; [unrolled: 1-line block ×5, first 2 shown]
	v_lshlrev_b64 v[0:1], 3, v[0:1]
	v_lshlrev_b64 v[2:3], 3, v[2:3]
	v_add_co_u32 v12, vcc_lo, s30, v0
	v_add_co_ci_u32_e64 v13, null, s31, v1, vcc_lo
	v_lshlrev_b64 v[0:1], 3, v[6:7]
	v_add_co_u32 v6, vcc_lo, v12, v2
	v_add_co_ci_u32_e64 v7, null, v13, v3, vcc_lo
	;; [unrolled: 3-line block ×4, first 2 shown]
	v_cmp_le_i64_e32 vcc_lo, s[6:7], v[14:15]
	v_add_co_u32 v0, s0, v2, v0
	v_add_co_ci_u32_e64 v1, null, v3, v1, s0
	s_or_b32 s5, vcc_lo, s5
	global_store_dwordx2 v[0:1], v[4:5], off
	s_andn2_b32 exec_lo, exec_lo, s5
	s_cbranch_execz .LBB12_62
.LBB12_4:                               ; =>This Loop Header: Depth=1
                                        ;     Child Loop BB12_7 Depth 2
	buffer_load_dword v1, off, s[72:75], 0 offset:212 ; 4-byte Folded Reload
	v_sub_nc_u32_e32 v0, 0, v14
	v_max_i32_e32 v0, v14, v0
	s_waitcnt vmcnt(0)
	v_mul_hi_u32 v1, v0, v1
	v_mul_lo_u32 v2, v1, s37
	v_sub_nc_u32_e32 v0, v0, v2
	v_add_nc_u32_e32 v2, 1, v1
	v_subrev_nc_u32_e32 v3, s37, v0
	v_cmp_le_u32_e32 vcc_lo, s37, v0
	v_cndmask_b32_e32 v1, v1, v2, vcc_lo
	v_cndmask_b32_e32 v0, v0, v3, vcc_lo
	v_ashrrev_i32_e32 v2, 31, v14
	v_add_nc_u32_e32 v3, 1, v1
	v_cmp_le_u32_e32 vcc_lo, s37, v0
	v_xor_b32_e32 v2, s41, v2
	v_cndmask_b32_e32 v0, v1, v3, vcc_lo
	v_xor_b32_e32 v0, v0, v2
	v_sub_nc_u32_e32 v0, v0, v2
	buffer_load_dword v2, off, s[72:75], 0 offset:216 ; 4-byte Folded Reload
	v_sub_nc_u32_e32 v1, 0, v0
	v_max_i32_e32 v1, v0, v1
	s_waitcnt vmcnt(0)
	v_mul_hi_u32 v2, v1, v2
	v_mul_lo_u32 v3, v2, s38
	v_sub_nc_u32_e32 v1, v1, v3
	v_add_nc_u32_e32 v3, 1, v2
	v_subrev_nc_u32_e32 v4, s38, v1
	v_cmp_le_u32_e32 vcc_lo, s38, v1
	v_cndmask_b32_e32 v2, v2, v3, vcc_lo
	v_cndmask_b32_e32 v1, v1, v4, vcc_lo
	v_ashrrev_i32_e32 v3, 31, v0
	v_add_nc_u32_e32 v4, 1, v2
	v_cmp_le_u32_e32 vcc_lo, s38, v1
	v_xor_b32_e32 v3, s42, v3
	v_cndmask_b32_e32 v1, v2, v4, vcc_lo
	v_xor_b32_e32 v1, v1, v3
	v_sub_nc_u32_e32 v1, v1, v3
	;; [unrolled: 19-line block ×3, first 2 shown]
	buffer_load_dword v4, off, s[72:75], 0 offset:208 ; 4-byte Folded Reload
	v_sub_nc_u32_e32 v3, 0, v2
	v_max_i32_e32 v3, v2, v3
	s_waitcnt vmcnt(0)
	v_mul_hi_u32 v4, v3, v4
	v_mul_lo_u32 v5, v4, s33
	v_sub_nc_u32_e32 v3, v3, v5
	v_add_nc_u32_e32 v5, 1, v4
	v_subrev_nc_u32_e32 v6, s33, v3
	v_cmp_le_u32_e32 vcc_lo, s33, v3
	v_cndmask_b32_e32 v4, v4, v5, vcc_lo
	v_cndmask_b32_e32 v3, v3, v6, vcc_lo
	v_ashrrev_i32_e32 v5, 31, v2
	v_add_nc_u32_e32 v6, 1, v4
	v_cmp_le_u32_e32 vcc_lo, s33, v3
	v_xor_b32_e32 v5, s8, v5
	v_cndmask_b32_e32 v3, v4, v6, vcc_lo
	v_mul_lo_u32 v4, v1, s11
	s_andn2_b32 vcc_lo, exec_lo, s36
	v_xor_b32_e32 v3, v3, v5
	v_sub_nc_u32_e32 v7, v0, v4
	v_sub_nc_u32_e32 v8, v3, v5
	v_mul_lo_u32 v3, v0, s24
	v_mul_lo_u32 v5, v2, s10
	;; [unrolled: 1-line block ×3, first 2 shown]
	v_sub_nc_u32_e32 v3, v14, v3
	v_sub_nc_u32_e32 v1, v1, v5
	;; [unrolled: 1-line block ×3, first 2 shown]
	s_cbranch_vccnz .LBB12_61
; %bb.5:                                ;   in Loop: Header=BB12_4 Depth=1
	buffer_store_dword v14, off, s[72:75], 0 offset:184 ; 4-byte Folded Spill
	buffer_store_dword v15, off, s[72:75], 0 offset:188 ; 4-byte Folded Spill
	buffer_store_dword v1, off, s[72:75], 0 offset:200 ; 4-byte Folded Spill
	v_add_nc_u32_e32 v21, s16, v1
	v_mul_lo_u32 v1, s28, v8
	v_mul_lo_u32 v46, v49, s12
	buffer_store_dword v3, off, s[72:75], 0 offset:192 ; 4-byte Folded Spill
	v_add_nc_u32_e32 v0, s18, v3
	v_add_nc_u32_e32 v23, s17, v7
	v_mul_lo_u32 v27, v21, s14
	buffer_store_dword v7, off, s[72:75], 0 offset:196 ; 4-byte Folded Spill
	v_cmp_gt_i32_e32 vcc_lo, s13, v21
	v_ashrrev_i32_e32 v2, 31, v1
	v_mul_lo_u32 v3, s19, v46
	v_or_b32_e32 v5, v0, v23
	v_cmp_gt_i32_e64 s0, s14, v23
	v_add_nc_u32_e32 v22, -1, v23
	v_lshlrev_b64 v[1:2], 3, v[1:2]
	v_add_nc_u32_e32 v7, v23, v27
	v_add_nc_u32_e32 v24, -2, v21
	v_add_nc_u32_e32 v28, -1, v21
	v_ashrrev_i32_e32 v4, 31, v3
	v_or_b32_e32 v13, v0, v22
	v_add_co_u32 v1, s1, s26, v1
	v_mul_lo_u32 v10, v7, s15
	v_lshlrev_b64 v[3:4], 3, v[3:4]
	v_or_b32_e32 v25, v5, v24
	buffer_store_dword v1, off, s[72:75], 0 ; 4-byte Folded Spill
	v_add_co_ci_u32_e64 v1, null, s27, v2, s1
	v_or_b32_e32 v29, v5, v28
	s_waitcnt lgkmcnt(0)
	v_add_co_u32 v2, s1, s34, v3
	buffer_store_dword v1, off, s[72:75], 0 offset:4 ; 4-byte Folded Spill
	v_add_nc_u32_e32 v1, -1, v0
	v_add_co_ci_u32_e64 v3, null, s35, v4, s1
	v_or_b32_e32 v4, v5, v21
	v_cmp_gt_i32_e64 s1, s15, v0
	v_or_b32_e32 v9, v1, v23
	buffer_store_dword v8, off, s[72:75], 0 offset:204 ; 4-byte Folded Spill
	v_add_nc_u32_e32 v8, v1, v10
	v_cmp_lt_i32_e64 s2, -1, v4
	s_and_b32 s63, s1, s0
	v_or_b32_e32 v7, v9, v21
	v_add_nc_u32_e32 v4, v0, v10
	v_add_nc_u32_e32 v14, v22, v27
	s_and_b32 s2, s63, s2
	v_or_b32_e32 v15, v1, v22
	v_cmp_lt_i32_e64 s3, -1, v7
	v_add_nc_u32_e32 v7, -2, v0
	s_and_b32 s45, s2, vcc_lo
	v_cmp_gt_i32_e64 s2, s15, v1
	v_ashrrev_i32_e32 v5, 31, v4
	v_or_b32_e32 v26, v9, v24
	v_or_b32_e32 v11, v7, v23
	;; [unrolled: 1-line block ×3, first 2 shown]
	s_and_b32 s64, s2, s0
	v_lshlrev_b64 v[4:5], 3, v[4:5]
	s_and_b32 s3, s64, s3
	v_or_b32_e32 v12, v11, v21
	s_and_b32 s46, s3, vcc_lo
	v_cmp_gt_i32_e64 s3, s15, v7
	v_ashrrev_i32_e32 v9, 31, v8
	v_mul_lo_u32 v17, v14, s15
	v_cmp_lt_i32_e64 s4, -1, v12
	v_or_b32_e32 v12, v13, v21
	s_and_b32 s65, s3, s0
	v_cmp_gt_i32_e64 s0, s14, v22
	v_add_nc_u32_e32 v10, v7, v10
	s_and_b32 s4, s65, s4
	buffer_store_dword v4, off, s[72:75], 0 offset:8 ; 4-byte Folded Spill
	buffer_store_dword v5, off, s[72:75], 0 offset:12 ; 4-byte Folded Spill
	s_and_b32 s47, s4, vcc_lo
	v_cmp_lt_i32_e64 s4, -1, v12
	v_or_b32_e32 v14, v15, v21
	v_lshlrev_b64 v[4:5], 3, v[8:9]
	s_and_b32 s66, s1, s0
	v_or_b32_e32 v16, v7, v22
	v_or_b32_e32 v43, v11, v24
	;; [unrolled: 1-line block ×3, first 2 shown]
	v_ashrrev_i32_e32 v11, 31, v10
	s_and_b32 s4, s66, s4
	v_add_nc_u32_e32 v12, v0, v17
	s_and_b32 s48, s4, vcc_lo
	v_cmp_lt_i32_e64 s4, -1, v14
	buffer_store_dword v4, off, s[72:75], 0 offset:16 ; 4-byte Folded Spill
	buffer_store_dword v5, off, s[72:75], 0 offset:20 ; 4-byte Folded Spill
	v_add_nc_u32_e32 v6, -2, v23
	v_or_b32_e32 v18, v16, v21
	v_lshlrev_b64 v[4:5], 3, v[10:11]
	s_and_b32 s67, s2, s0
	v_or_b32_e32 v44, v13, v24
	v_or_b32_e32 v34, v13, v28
	v_ashrrev_i32_e32 v13, 31, v12
	s_and_b32 s4, s67, s4
	v_add_nc_u32_e32 v14, v1, v17
	s_and_b32 s49, s4, vcc_lo
	v_cmp_lt_i32_e64 s4, -1, v18
	v_add_nc_u32_e32 v18, v6, v27
	buffer_store_dword v4, off, s[72:75], 0 offset:24 ; 4-byte Folded Spill
	buffer_store_dword v5, off, s[72:75], 0 offset:28 ; 4-byte Folded Spill
	v_lshlrev_b64 v[4:5], 3, v[12:13]
	v_or_b32_e32 v19, v0, v6
	v_or_b32_e32 v45, v15, v24
	;; [unrolled: 1-line block ×3, first 2 shown]
	v_ashrrev_i32_e32 v15, 31, v14
	v_mul_lo_u32 v35, v18, s15
	v_or_b32_e32 v47, v16, v24
	v_or_b32_e32 v37, v16, v28
	v_add_nc_u32_e32 v16, v7, v17
	v_or_b32_e32 v18, v19, v21
	buffer_store_dword v4, off, s[72:75], 0 offset:32 ; 4-byte Folded Spill
	buffer_store_dword v5, off, s[72:75], 0 offset:36 ; 4-byte Folded Spill
	v_lshlrev_b64 v[4:5], 3, v[14:15]
	v_or_b32_e32 v30, v1, v6
	s_and_b32 s68, s3, s0
	v_ashrrev_i32_e32 v17, 31, v16
	s_and_b32 s0, s68, s4
	v_cmp_lt_i32_e64 s4, -1, v18
	v_add_nc_u32_e32 v18, v0, v35
	s_and_b32 s50, s0, vcc_lo
	v_cmp_gt_i32_e64 s0, s14, v6
	v_or_b32_e32 v20, v30, v21
	buffer_store_dword v4, off, s[72:75], 0 offset:40 ; 4-byte Folded Spill
	buffer_store_dword v5, off, s[72:75], 0 offset:44 ; 4-byte Folded Spill
	v_subrev_nc_u32_e32 v42, s14, v27
	v_lshlrev_b64 v[4:5], 3, v[16:17]
	v_or_b32_e32 v32, v7, v6
	v_or_b32_e32 v50, v19, v24
	;; [unrolled: 1-line block ×3, first 2 shown]
	v_ashrrev_i32_e32 v19, 31, v18
	s_and_b32 s70, s1, s0
	v_cmp_lt_i32_e64 s1, -1, v20
	v_add_nc_u32_e32 v20, v1, v35
	v_or_b32_e32 v51, v30, v24
	v_or_b32_e32 v40, v30, v28
	v_add_nc_u32_e32 v30, v23, v42
	v_or_b32_e32 v39, v32, v21
	buffer_store_dword v4, off, s[72:75], 0 offset:48 ; 4-byte Folded Spill
	buffer_store_dword v5, off, s[72:75], 0 offset:52 ; 4-byte Folded Spill
	s_and_b32 s69, s2, s0
	v_lshlrev_b64 v[4:5], 3, v[18:19]
	s_and_b32 s1, s69, s1
	v_ashrrev_i32_e32 v21, 31, v20
	v_add_nc_u32_e32 v27, v7, v35
	v_mul_lo_u32 v35, v30, s15
	s_and_b32 s52, s1, vcc_lo
	v_cmp_lt_i32_e64 s1, -1, v39
	buffer_store_dword v4, off, s[72:75], 0 offset:56 ; 4-byte Folded Spill
	buffer_store_dword v5, off, s[72:75], 0 offset:60 ; 4-byte Folded Spill
	s_and_b32 s71, s3, s0
	v_lshlrev_b64 v[4:5], 3, v[20:21]
	v_or_b32_e32 v41, v32, v28
	s_and_b32 s2, s71, s1
	v_cmp_gt_i32_e64 s1, s13, v28
	v_ashrrev_i32_e32 v28, 31, v27
	v_cmp_lt_i32_e64 s0, -1, v29
	v_add_nc_u32_e32 v30, v22, v42
	v_add_nc_u32_e32 v29, v0, v35
	buffer_store_dword v4, off, s[72:75], 0 offset:64 ; 4-byte Folded Spill
	buffer_store_dword v5, off, s[72:75], 0 offset:68 ; 4-byte Folded Spill
	v_lshlrev_b64 v[4:5], 3, v[27:28]
	s_and_b32 s4, s70, s4
	v_mul_lo_u32 v39, v30, s15
	v_ashrrev_i32_e32 v30, 31, v29
	s_and_b32 s51, s4, vcc_lo
	s_and_b32 s53, s2, vcc_lo
	v_cmp_lt_i32_e32 vcc_lo, -1, v31
	v_add_nc_u32_e32 v31, v1, v35
	buffer_store_dword v4, off, s[72:75], 0 offset:72 ; 4-byte Folded Spill
	buffer_store_dword v5, off, s[72:75], 0 offset:76 ; 4-byte Folded Spill
	v_lshlrev_b64 v[4:5], 3, v[29:30]
	v_or_b32_e32 v54, v32, v24
	s_and_b32 s0, s63, s0
	v_ashrrev_i32_e32 v32, 31, v31
	s_and_b32 s54, s0, s1
	s_and_b32 s0, s64, vcc_lo
	v_cmp_lt_i32_e32 vcc_lo, -1, v33
	v_add_nc_u32_e32 v33, v7, v35
	buffer_store_dword v4, off, s[72:75], 0 offset:80 ; 4-byte Folded Spill
	buffer_store_dword v5, off, s[72:75], 0 offset:84 ; 4-byte Folded Spill
	v_lshlrev_b64 v[4:5], 3, v[31:32]
	s_and_b32 s55, s0, s1
	v_cmp_lt_i32_e64 s0, -1, v34
	v_ashrrev_i32_e32 v34, 31, v33
	v_add_nc_u32_e32 v35, v0, v39
	s_and_b32 s2, s65, vcc_lo
	v_cmp_lt_i32_e32 vcc_lo, -1, v36
	buffer_store_dword v4, off, s[72:75], 0 offset:88 ; 4-byte Folded Spill
	buffer_store_dword v5, off, s[72:75], 0 offset:92 ; 4-byte Folded Spill
	v_lshlrev_b64 v[4:5], 3, v[33:34]
	s_and_b32 s0, s66, s0
	v_ashrrev_i32_e32 v36, 31, v35
	s_and_b32 s57, s0, s1
	s_and_b32 s0, s67, vcc_lo
	v_cmp_lt_i32_e32 vcc_lo, -1, v37
	v_add_nc_u32_e32 v37, v1, v39
	v_add_nc_u32_e32 v48, v6, v42
	buffer_store_dword v4, off, s[72:75], 0 offset:96 ; 4-byte Folded Spill
	buffer_store_dword v5, off, s[72:75], 0 offset:100 ; 4-byte Folded Spill
	v_lshlrev_b64 v[4:5], 3, v[35:36]
	s_and_b32 s58, s0, s1
	v_cmp_lt_i32_e64 s0, -1, v38
	v_ashrrev_i32_e32 v38, 31, v37
	v_mul_lo_u32 v48, v48, s15
	v_add_nc_u32_e32 v39, v7, v39
	buffer_store_dword v4, off, s[72:75], 0 offset:104 ; 4-byte Folded Spill
	buffer_store_dword v5, off, s[72:75], 0 offset:108 ; 4-byte Folded Spill
	s_and_b32 s56, s2, s1
	v_lshlrev_b64 v[4:5], 3, v[37:38]
	s_and_b32 s2, s68, vcc_lo
	v_cmp_lt_i32_e32 vcc_lo, -1, v40
	v_ashrrev_i32_e32 v40, 31, v39
	s_and_b32 s59, s2, s1
	s_and_b32 s2, s70, s0
	v_cmp_lt_i32_e64 s0, -1, v41
	v_add_nc_u32_e32 v41, v0, v48
	v_mov_b32_e32 v57, v49
	v_subrev_nc_u32_e32 v49, s14, v42
	buffer_store_dword v4, off, s[72:75], 0 offset:112 ; 4-byte Folded Spill
	buffer_store_dword v5, off, s[72:75], 0 offset:116 ; 4-byte Folded Spill
	v_lshlrev_b64 v[4:5], 3, v[39:40]
	v_ashrrev_i32_e32 v42, 31, v41
	s_and_b32 s60, s2, s1
	s_and_b32 s2, s69, vcc_lo
	v_cmp_gt_i32_e32 vcc_lo, s13, v24
	v_add_nc_u32_e32 v24, v23, v49
	v_add_nc_u32_e32 v23, v1, v48
	buffer_store_dword v4, off, s[72:75], 0 offset:120 ; 4-byte Folded Spill
	buffer_store_dword v5, off, s[72:75], 0 offset:124 ; 4-byte Folded Spill
	v_lshlrev_b64 v[4:5], 3, v[41:42]
	s_and_b32 s61, s2, s1
	v_mul_lo_u32 v52, v24, s15
	v_ashrrev_i32_e32 v24, 31, v23
	v_cmp_lt_i32_e64 s2, -1, v25
	v_add_nc_u32_e32 v25, v7, v48
	buffer_store_dword v4, off, s[72:75], 0 offset:128 ; 4-byte Folded Spill
	buffer_store_dword v5, off, s[72:75], 0 offset:132 ; 4-byte Folded Spill
	s_and_b32 s3, s71, s0
	v_lshlrev_b64 v[4:5], 3, v[23:24]
	v_cmp_lt_i32_e64 s0, -1, v26
	s_and_b32 s62, s3, s1
	s_and_b32 s1, s63, s2
	v_ashrrev_i32_e32 v26, 31, v25
	s_and_b32 s63, s1, vcc_lo
	v_cmp_lt_i32_e64 s1, -1, v43
	v_add_nc_u32_e32 v43, v0, v52
	buffer_store_dword v4, off, s[72:75], 0 offset:136 ; 4-byte Folded Spill
	buffer_store_dword v5, off, s[72:75], 0 offset:140 ; 4-byte Folded Spill
	v_lshlrev_b64 v[4:5], 3, v[25:26]
	v_cmp_lt_i32_e64 s2, -1, v44
	v_cmp_lt_i32_e64 s3, -1, v47
	v_ashrrev_i32_e32 v44, 31, v43
	v_add_nc_u32_e32 v47, v1, v52
	v_add_nc_u32_e32 v22, v22, v49
	buffer_store_dword v4, off, s[72:75], 0 offset:144 ; 4-byte Folded Spill
	buffer_store_dword v5, off, s[72:75], 0 offset:148 ; 4-byte Folded Spill
	v_add_nc_u32_e32 v6, v6, v49
	v_lshlrev_b64 v[4:5], 3, v[43:44]
	v_ashrrev_i32_e32 v48, 31, v47
	v_mul_lo_u32 v22, v22, s15
	v_add_nc_u32_e32 v49, v7, v52
	buffer_store_dword v4, off, s[72:75], 0 offset:152 ; 4-byte Folded Spill
	buffer_store_dword v5, off, s[72:75], 0 offset:156 ; 4-byte Folded Spill
	s_and_b32 s1, s65, s1
	v_lshlrev_b64 v[4:5], 3, v[47:48]
	s_and_b32 s4, s64, s0
	s_and_b32 s65, s1, vcc_lo
	v_cmp_lt_i32_e64 s1, -1, v50
	v_ashrrev_i32_e32 v50, 31, v49
	v_cmp_lt_i32_e64 s0, -1, v45
	v_mul_lo_u32 v45, v6, s15
	s_and_b32 s64, s4, vcc_lo
	v_cmp_lt_i32_e64 s4, -1, v51
	v_add_nc_u32_e32 v51, v0, v22
	buffer_store_dword v4, off, s[72:75], 0 offset:160 ; 4-byte Folded Spill
	buffer_store_dword v5, off, s[72:75], 0 offset:164 ; 4-byte Folded Spill
	v_lshlrev_b64 v[4:5], 3, v[49:50]
	v_add_nc_u32_e32 v53, v1, v22
	v_add_nc_u32_e32 v55, v7, v22
	v_ashrrev_i32_e32 v52, 31, v51
	v_add_nc_u32_e32 v0, v0, v45
	v_add_nc_u32_e32 v6, v1, v45
	;; [unrolled: 1-line block ×3, first 2 shown]
	buffer_store_dword v4, off, s[72:75], 0 offset:168 ; 4-byte Folded Spill
	buffer_store_dword v5, off, s[72:75], 0 offset:172 ; 4-byte Folded Spill
	s_and_b32 s0, s67, s0
	v_mov_b32_e32 v49, v57
	v_lshlrev_b64 v[4:5], 3, v[51:52]
	s_and_b32 s2, s66, s2
	s_and_b32 s66, s0, vcc_lo
	v_cmp_lt_i32_e64 s0, -1, v54
	v_ashrrev_i32_e32 v54, 31, v53
	v_ashrrev_i32_e32 v56, 31, v55
	;; [unrolled: 1-line block ×5, first 2 shown]
	v_mul_lo_u32 v58, s44, v49
	buffer_store_dword v4, off, s[72:75], 0 offset:176 ; 4-byte Folded Spill
	buffer_store_dword v5, off, s[72:75], 0 offset:180 ; 4-byte Folded Spill
	v_lshlrev_b64 v[50:51], 3, v[53:54]
	v_lshlrev_b64 v[52:53], 3, v[55:56]
	;; [unrolled: 1-line block ×5, first 2 shown]
	v_mov_b32_e32 v4, 0
	v_mov_b32_e32 v5, 0
	v_add_nc_u32_e32 v47, s12, v46
	s_and_b32 s3, s68, s3
	s_and_b32 s1, s70, s1
	;; [unrolled: 1-line block ×4, first 2 shown]
	s_and_b32 s2, s2, vcc_lo
	s_and_b32 s3, s3, vcc_lo
	;; [unrolled: 1-line block ×5, first 2 shown]
	s_mov_b32 s4, 0
	s_branch .LBB12_7
.LBB12_6:                               ;   in Loop: Header=BB12_7 Depth=2
	s_or_b32 exec_lo, exec_lo, s68
	s_waitcnt vmcnt(26)
	v_fma_f64 v[4:5], v[62:63], v[64:65], v[4:5]
	v_add_nc_u32_e32 v46, 1, v46
	v_add_co_u32 v2, vcc_lo, 0xd8, v2
	v_add_co_ci_u32_e64 v3, null, 0, v3, vcc_lo
	v_cmp_ge_i32_e32 vcc_lo, v46, v47
	v_add_nc_u32_e32 v58, s29, v58
	s_or_b32 s4, vcc_lo, s4
	s_waitcnt vmcnt(25)
	v_fma_f64 v[4:5], v[66:67], v[70:71], v[4:5]
	s_waitcnt vmcnt(24)
	v_fma_f64 v[4:5], v[72:73], v[68:69], v[4:5]
	;; [unrolled: 2-line block ×26, first 2 shown]
	s_andn2_b32 exec_lo, exec_lo, s4
	s_cbranch_execz .LBB12_2
.LBB12_7:                               ;   Parent Loop BB12_4 Depth=1
                                        ; =>  This Inner Loop Header: Depth=2
	buffer_load_dword v6, off, s[72:75], 0  ; 4-byte Folded Reload
	v_ashrrev_i32_e32 v59, 31, v58
	global_load_dwordx2 v[62:63], v[2:3], off
	v_mov_b32_e32 v64, 0
	v_mov_b32_e32 v65, 0
	v_lshlrev_b64 v[0:1], 3, v[58:59]
	s_waitcnt vmcnt(1)
	v_add_co_u32 v59, vcc_lo, v6, v0
	buffer_load_dword v0, off, s[72:75], 0 offset:4 ; 4-byte Folded Reload
	s_waitcnt vmcnt(0)
	v_add_co_ci_u32_e64 v48, null, v0, v1, vcc_lo
	s_and_saveexec_b32 s68, s45
	s_cbranch_execz .LBB12_9
; %bb.8:                                ;   in Loop: Header=BB12_7 Depth=2
	s_clause 0x1
	buffer_load_dword v0, off, s[72:75], 0 offset:8
	buffer_load_dword v1, off, s[72:75], 0 offset:12
	s_waitcnt vmcnt(1)
	v_add_co_u32 v0, vcc_lo, v59, v0
	s_waitcnt vmcnt(0)
	v_add_co_ci_u32_e64 v1, null, v48, v1, vcc_lo
	global_load_dwordx2 v[64:65], v[0:1], off
.LBB12_9:                               ;   in Loop: Header=BB12_7 Depth=2
	s_or_b32 exec_lo, exec_lo, s68
	global_load_dwordx2 v[66:67], v[2:3], off offset:8
	v_mov_b32_e32 v68, 0
	v_mov_b32_e32 v70, 0
	v_mov_b32_e32 v69, 0
	v_mov_b32_e32 v71, 0
	s_and_saveexec_b32 s68, s46
	s_cbranch_execz .LBB12_11
; %bb.10:                               ;   in Loop: Header=BB12_7 Depth=2
	s_clause 0x1
	buffer_load_dword v0, off, s[72:75], 0 offset:16
	buffer_load_dword v1, off, s[72:75], 0 offset:20
	s_waitcnt vmcnt(1)
	v_add_co_u32 v0, vcc_lo, v59, v0
	s_waitcnt vmcnt(0)
	v_add_co_ci_u32_e64 v1, null, v48, v1, vcc_lo
	global_load_dwordx2 v[70:71], v[0:1], off
.LBB12_11:                              ;   in Loop: Header=BB12_7 Depth=2
	s_or_b32 exec_lo, exec_lo, s68
	global_load_dwordx2 v[72:73], v[2:3], off offset:16
	s_and_saveexec_b32 s68, s47
	s_cbranch_execz .LBB12_13
; %bb.12:                               ;   in Loop: Header=BB12_7 Depth=2
	s_clause 0x1
	buffer_load_dword v0, off, s[72:75], 0 offset:24
	buffer_load_dword v1, off, s[72:75], 0 offset:28
	s_waitcnt vmcnt(1)
	v_add_co_u32 v0, vcc_lo, v59, v0
	s_waitcnt vmcnt(0)
	v_add_co_ci_u32_e64 v1, null, v48, v1, vcc_lo
	global_load_dwordx2 v[68:69], v[0:1], off
.LBB12_13:                              ;   in Loop: Header=BB12_7 Depth=2
	s_or_b32 exec_lo, exec_lo, s68
	global_load_dwordx2 v[74:75], v[2:3], off offset:24
	v_mov_b32_e32 v76, 0
	v_mov_b32_e32 v78, 0
	v_mov_b32_e32 v77, 0
	v_mov_b32_e32 v79, 0
	s_and_saveexec_b32 s68, s48
	s_cbranch_execz .LBB12_15
; %bb.14:                               ;   in Loop: Header=BB12_7 Depth=2
	s_clause 0x1
	buffer_load_dword v0, off, s[72:75], 0 offset:32
	buffer_load_dword v1, off, s[72:75], 0 offset:36
	s_waitcnt vmcnt(1)
	v_add_co_u32 v0, vcc_lo, v59, v0
	s_waitcnt vmcnt(0)
	v_add_co_ci_u32_e64 v1, null, v48, v1, vcc_lo
	global_load_dwordx2 v[78:79], v[0:1], off
.LBB12_15:                              ;   in Loop: Header=BB12_7 Depth=2
	s_or_b32 exec_lo, exec_lo, s68
	global_load_dwordx2 v[80:81], v[2:3], off offset:32
	s_and_saveexec_b32 s68, s49
	s_cbranch_execz .LBB12_17
; %bb.16:                               ;   in Loop: Header=BB12_7 Depth=2
	s_clause 0x1
	buffer_load_dword v0, off, s[72:75], 0 offset:40
	buffer_load_dword v1, off, s[72:75], 0 offset:44
	s_waitcnt vmcnt(1)
	v_add_co_u32 v0, vcc_lo, v59, v0
	s_waitcnt vmcnt(0)
	v_add_co_ci_u32_e64 v1, null, v48, v1, vcc_lo
	global_load_dwordx2 v[76:77], v[0:1], off
.LBB12_17:                              ;   in Loop: Header=BB12_7 Depth=2
	;; [unrolled: 32-line block ×10, first 2 shown]
	s_or_b32 exec_lo, exec_lo, s68
	global_load_dwordx2 v[22:23], v[2:3], off offset:168
	v_mov_b32_e32 v24, 0
	v_mov_b32_e32 v26, 0
	;; [unrolled: 1-line block ×4, first 2 shown]
	s_and_saveexec_b32 s68, s2
	s_cbranch_execz .LBB12_51
; %bb.50:                               ;   in Loop: Header=BB12_7 Depth=2
	s_clause 0x1
	buffer_load_dword v26, off, s[72:75], 0 offset:176
	buffer_load_dword v27, off, s[72:75], 0 offset:180
	s_waitcnt vmcnt(1)
	v_add_co_u32 v26, vcc_lo, v59, v26
	s_waitcnt vmcnt(0)
	v_add_co_ci_u32_e64 v27, null, v48, v27, vcc_lo
	global_load_dwordx2 v[26:27], v[26:27], off
.LBB12_51:                              ;   in Loop: Header=BB12_7 Depth=2
	s_or_b32 exec_lo, exec_lo, s68
	global_load_dwordx2 v[28:29], v[2:3], off offset:176
	s_and_saveexec_b32 s68, s66
	s_cbranch_execz .LBB12_53
; %bb.52:                               ;   in Loop: Header=BB12_7 Depth=2
	v_add_co_u32 v24, vcc_lo, v59, v50
	v_add_co_ci_u32_e64 v25, null, v48, v51, vcc_lo
	global_load_dwordx2 v[24:25], v[24:25], off
.LBB12_53:                              ;   in Loop: Header=BB12_7 Depth=2
	s_or_b32 exec_lo, exec_lo, s68
	global_load_dwordx2 v[30:31], v[2:3], off offset:184
	v_mov_b32_e32 v32, 0
	v_mov_b32_e32 v34, 0
	;; [unrolled: 1-line block ×4, first 2 shown]
	s_and_saveexec_b32 s68, s3
	s_cbranch_execz .LBB12_55
; %bb.54:                               ;   in Loop: Header=BB12_7 Depth=2
	v_add_co_u32 v34, vcc_lo, v59, v52
	v_add_co_ci_u32_e64 v35, null, v48, v53, vcc_lo
	global_load_dwordx2 v[34:35], v[34:35], off
.LBB12_55:                              ;   in Loop: Header=BB12_7 Depth=2
	s_or_b32 exec_lo, exec_lo, s68
	global_load_dwordx2 v[36:37], v[2:3], off offset:192
	s_and_saveexec_b32 s68, s1
	s_cbranch_execz .LBB12_57
; %bb.56:                               ;   in Loop: Header=BB12_7 Depth=2
	v_add_co_u32 v32, vcc_lo, v59, v54
	v_add_co_ci_u32_e64 v33, null, v48, v55, vcc_lo
	global_load_dwordx2 v[32:33], v[32:33], off
.LBB12_57:                              ;   in Loop: Header=BB12_7 Depth=2
	s_or_b32 exec_lo, exec_lo, s68
	global_load_dwordx2 v[38:39], v[2:3], off offset:200
	v_mov_b32_e32 v40, 0
	v_mov_b32_e32 v42, 0
	;; [unrolled: 1-line block ×4, first 2 shown]
	s_and_saveexec_b32 s68, s0
	s_cbranch_execz .LBB12_59
; %bb.58:                               ;   in Loop: Header=BB12_7 Depth=2
	v_add_co_u32 v42, vcc_lo, v59, v56
	v_add_co_ci_u32_e64 v43, null, v48, v57, vcc_lo
	global_load_dwordx2 v[42:43], v[42:43], off
.LBB12_59:                              ;   in Loop: Header=BB12_7 Depth=2
	s_or_b32 exec_lo, exec_lo, s68
	global_load_dwordx2 v[44:45], v[2:3], off offset:208
	s_and_saveexec_b32 s68, s67
	s_cbranch_execz .LBB12_6
; %bb.60:                               ;   in Loop: Header=BB12_7 Depth=2
	v_add_co_u32 v40, vcc_lo, v59, v60
	v_add_co_ci_u32_e64 v41, null, v48, v61, vcc_lo
	global_load_dwordx2 v[40:41], v[40:41], off
	s_branch .LBB12_6
.LBB12_61:                              ;   in Loop: Header=BB12_4 Depth=1
	v_mov_b32_e32 v4, 0
	v_mov_b32_e32 v5, 0
	s_branch .LBB12_3
.LBB12_62:
	s_endpgm
	.section	.rodata,"a",@progbits
	.p2align	6, 0x0
	.amdhsa_kernel _ZN2at6native12_GLOBAL__N_143conv_depthwise3d_cuda_backward_input_kernelIddLi3ELi3ELi3ELi1ELi1ELi1ELi1ELi1ELi1EEEvN5torch10headeronly6detail27GenericPackedTensorAccessorINS5_14TensorAccessorIN3c108ArrayRefIlEEKT_Lm4ENS4_16DefaultPtrTraitsEiEENS_6detail16IndexBoundsCheckILm5EiEESC_Lm5ESD_iEENS6_INS7_ISA_SB_Lm4ESD_iEESH_SB_Lm5ESD_iEESI_iiiiiiiii
		.amdhsa_group_segment_fixed_size 0
		.amdhsa_private_segment_fixed_size 228
		.amdhsa_kernarg_size 440
		.amdhsa_user_sgpr_count 6
		.amdhsa_user_sgpr_private_segment_buffer 1
		.amdhsa_user_sgpr_dispatch_ptr 0
		.amdhsa_user_sgpr_queue_ptr 0
		.amdhsa_user_sgpr_kernarg_segment_ptr 1
		.amdhsa_user_sgpr_dispatch_id 0
		.amdhsa_user_sgpr_flat_scratch_init 0
		.amdhsa_user_sgpr_private_segment_size 0
		.amdhsa_wavefront_size32 1
		.amdhsa_uses_dynamic_stack 0
		.amdhsa_system_sgpr_private_segment_wavefront_offset 1
		.amdhsa_system_sgpr_workgroup_id_x 1
		.amdhsa_system_sgpr_workgroup_id_y 0
		.amdhsa_system_sgpr_workgroup_id_z 0
		.amdhsa_system_sgpr_workgroup_info 0
		.amdhsa_system_vgpr_workitem_id 0
		.amdhsa_next_free_vgpr 128
		.amdhsa_next_free_sgpr 76
		.amdhsa_reserve_vcc 1
		.amdhsa_reserve_flat_scratch 0
		.amdhsa_float_round_mode_32 0
		.amdhsa_float_round_mode_16_64 0
		.amdhsa_float_denorm_mode_32 3
		.amdhsa_float_denorm_mode_16_64 3
		.amdhsa_dx10_clamp 1
		.amdhsa_ieee_mode 1
		.amdhsa_fp16_overflow 0
		.amdhsa_workgroup_processor_mode 1
		.amdhsa_memory_ordered 1
		.amdhsa_forward_progress 1
		.amdhsa_shared_vgpr_count 0
		.amdhsa_exception_fp_ieee_invalid_op 0
		.amdhsa_exception_fp_denorm_src 0
		.amdhsa_exception_fp_ieee_div_zero 0
		.amdhsa_exception_fp_ieee_overflow 0
		.amdhsa_exception_fp_ieee_underflow 0
		.amdhsa_exception_fp_ieee_inexact 0
		.amdhsa_exception_int_div_zero 0
	.end_amdhsa_kernel
	.section	.text._ZN2at6native12_GLOBAL__N_143conv_depthwise3d_cuda_backward_input_kernelIddLi3ELi3ELi3ELi1ELi1ELi1ELi1ELi1ELi1EEEvN5torch10headeronly6detail27GenericPackedTensorAccessorINS5_14TensorAccessorIN3c108ArrayRefIlEEKT_Lm4ENS4_16DefaultPtrTraitsEiEENS_6detail16IndexBoundsCheckILm5EiEESC_Lm5ESD_iEENS6_INS7_ISA_SB_Lm4ESD_iEESH_SB_Lm5ESD_iEESI_iiiiiiiii,"axG",@progbits,_ZN2at6native12_GLOBAL__N_143conv_depthwise3d_cuda_backward_input_kernelIddLi3ELi3ELi3ELi1ELi1ELi1ELi1ELi1ELi1EEEvN5torch10headeronly6detail27GenericPackedTensorAccessorINS5_14TensorAccessorIN3c108ArrayRefIlEEKT_Lm4ENS4_16DefaultPtrTraitsEiEENS_6detail16IndexBoundsCheckILm5EiEESC_Lm5ESD_iEENS6_INS7_ISA_SB_Lm4ESD_iEESH_SB_Lm5ESD_iEESI_iiiiiiiii,comdat
.Lfunc_end12:
	.size	_ZN2at6native12_GLOBAL__N_143conv_depthwise3d_cuda_backward_input_kernelIddLi3ELi3ELi3ELi1ELi1ELi1ELi1ELi1ELi1EEEvN5torch10headeronly6detail27GenericPackedTensorAccessorINS5_14TensorAccessorIN3c108ArrayRefIlEEKT_Lm4ENS4_16DefaultPtrTraitsEiEENS_6detail16IndexBoundsCheckILm5EiEESC_Lm5ESD_iEENS6_INS7_ISA_SB_Lm4ESD_iEESH_SB_Lm5ESD_iEESI_iiiiiiiii, .Lfunc_end12-_ZN2at6native12_GLOBAL__N_143conv_depthwise3d_cuda_backward_input_kernelIddLi3ELi3ELi3ELi1ELi1ELi1ELi1ELi1ELi1EEEvN5torch10headeronly6detail27GenericPackedTensorAccessorINS5_14TensorAccessorIN3c108ArrayRefIlEEKT_Lm4ENS4_16DefaultPtrTraitsEiEENS_6detail16IndexBoundsCheckILm5EiEESC_Lm5ESD_iEENS6_INS7_ISA_SB_Lm4ESD_iEESH_SB_Lm5ESD_iEESI_iiiiiiiii
                                        ; -- End function
	.set _ZN2at6native12_GLOBAL__N_143conv_depthwise3d_cuda_backward_input_kernelIddLi3ELi3ELi3ELi1ELi1ELi1ELi1ELi1ELi1EEEvN5torch10headeronly6detail27GenericPackedTensorAccessorINS5_14TensorAccessorIN3c108ArrayRefIlEEKT_Lm4ENS4_16DefaultPtrTraitsEiEENS_6detail16IndexBoundsCheckILm5EiEESC_Lm5ESD_iEENS6_INS7_ISA_SB_Lm4ESD_iEESH_SB_Lm5ESD_iEESI_iiiiiiiii.num_vgpr, 128
	.set _ZN2at6native12_GLOBAL__N_143conv_depthwise3d_cuda_backward_input_kernelIddLi3ELi3ELi3ELi1ELi1ELi1ELi1ELi1ELi1EEEvN5torch10headeronly6detail27GenericPackedTensorAccessorINS5_14TensorAccessorIN3c108ArrayRefIlEEKT_Lm4ENS4_16DefaultPtrTraitsEiEENS_6detail16IndexBoundsCheckILm5EiEESC_Lm5ESD_iEENS6_INS7_ISA_SB_Lm4ESD_iEESH_SB_Lm5ESD_iEESI_iiiiiiiii.num_agpr, 0
	.set _ZN2at6native12_GLOBAL__N_143conv_depthwise3d_cuda_backward_input_kernelIddLi3ELi3ELi3ELi1ELi1ELi1ELi1ELi1ELi1EEEvN5torch10headeronly6detail27GenericPackedTensorAccessorINS5_14TensorAccessorIN3c108ArrayRefIlEEKT_Lm4ENS4_16DefaultPtrTraitsEiEENS_6detail16IndexBoundsCheckILm5EiEESC_Lm5ESD_iEENS6_INS7_ISA_SB_Lm4ESD_iEESH_SB_Lm5ESD_iEESI_iiiiiiiii.numbered_sgpr, 76
	.set _ZN2at6native12_GLOBAL__N_143conv_depthwise3d_cuda_backward_input_kernelIddLi3ELi3ELi3ELi1ELi1ELi1ELi1ELi1ELi1EEEvN5torch10headeronly6detail27GenericPackedTensorAccessorINS5_14TensorAccessorIN3c108ArrayRefIlEEKT_Lm4ENS4_16DefaultPtrTraitsEiEENS_6detail16IndexBoundsCheckILm5EiEESC_Lm5ESD_iEENS6_INS7_ISA_SB_Lm4ESD_iEESH_SB_Lm5ESD_iEESI_iiiiiiiii.num_named_barrier, 0
	.set _ZN2at6native12_GLOBAL__N_143conv_depthwise3d_cuda_backward_input_kernelIddLi3ELi3ELi3ELi1ELi1ELi1ELi1ELi1ELi1EEEvN5torch10headeronly6detail27GenericPackedTensorAccessorINS5_14TensorAccessorIN3c108ArrayRefIlEEKT_Lm4ENS4_16DefaultPtrTraitsEiEENS_6detail16IndexBoundsCheckILm5EiEESC_Lm5ESD_iEENS6_INS7_ISA_SB_Lm4ESD_iEESH_SB_Lm5ESD_iEESI_iiiiiiiii.private_seg_size, 228
	.set _ZN2at6native12_GLOBAL__N_143conv_depthwise3d_cuda_backward_input_kernelIddLi3ELi3ELi3ELi1ELi1ELi1ELi1ELi1ELi1EEEvN5torch10headeronly6detail27GenericPackedTensorAccessorINS5_14TensorAccessorIN3c108ArrayRefIlEEKT_Lm4ENS4_16DefaultPtrTraitsEiEENS_6detail16IndexBoundsCheckILm5EiEESC_Lm5ESD_iEENS6_INS7_ISA_SB_Lm4ESD_iEESH_SB_Lm5ESD_iEESI_iiiiiiiii.uses_vcc, 1
	.set _ZN2at6native12_GLOBAL__N_143conv_depthwise3d_cuda_backward_input_kernelIddLi3ELi3ELi3ELi1ELi1ELi1ELi1ELi1ELi1EEEvN5torch10headeronly6detail27GenericPackedTensorAccessorINS5_14TensorAccessorIN3c108ArrayRefIlEEKT_Lm4ENS4_16DefaultPtrTraitsEiEENS_6detail16IndexBoundsCheckILm5EiEESC_Lm5ESD_iEENS6_INS7_ISA_SB_Lm4ESD_iEESH_SB_Lm5ESD_iEESI_iiiiiiiii.uses_flat_scratch, 0
	.set _ZN2at6native12_GLOBAL__N_143conv_depthwise3d_cuda_backward_input_kernelIddLi3ELi3ELi3ELi1ELi1ELi1ELi1ELi1ELi1EEEvN5torch10headeronly6detail27GenericPackedTensorAccessorINS5_14TensorAccessorIN3c108ArrayRefIlEEKT_Lm4ENS4_16DefaultPtrTraitsEiEENS_6detail16IndexBoundsCheckILm5EiEESC_Lm5ESD_iEENS6_INS7_ISA_SB_Lm4ESD_iEESH_SB_Lm5ESD_iEESI_iiiiiiiii.has_dyn_sized_stack, 0
	.set _ZN2at6native12_GLOBAL__N_143conv_depthwise3d_cuda_backward_input_kernelIddLi3ELi3ELi3ELi1ELi1ELi1ELi1ELi1ELi1EEEvN5torch10headeronly6detail27GenericPackedTensorAccessorINS5_14TensorAccessorIN3c108ArrayRefIlEEKT_Lm4ENS4_16DefaultPtrTraitsEiEENS_6detail16IndexBoundsCheckILm5EiEESC_Lm5ESD_iEENS6_INS7_ISA_SB_Lm4ESD_iEESH_SB_Lm5ESD_iEESI_iiiiiiiii.has_recursion, 0
	.set _ZN2at6native12_GLOBAL__N_143conv_depthwise3d_cuda_backward_input_kernelIddLi3ELi3ELi3ELi1ELi1ELi1ELi1ELi1ELi1EEEvN5torch10headeronly6detail27GenericPackedTensorAccessorINS5_14TensorAccessorIN3c108ArrayRefIlEEKT_Lm4ENS4_16DefaultPtrTraitsEiEENS_6detail16IndexBoundsCheckILm5EiEESC_Lm5ESD_iEENS6_INS7_ISA_SB_Lm4ESD_iEESH_SB_Lm5ESD_iEESI_iiiiiiiii.has_indirect_call, 0
	.section	.AMDGPU.csdata,"",@progbits
; Kernel info:
; codeLenInByte = 5480
; TotalNumSgprs: 78
; NumVgprs: 128
; ScratchSize: 228
; MemoryBound: 0
; FloatMode: 240
; IeeeMode: 1
; LDSByteSize: 0 bytes/workgroup (compile time only)
; SGPRBlocks: 0
; VGPRBlocks: 15
; NumSGPRsForWavesPerEU: 78
; NumVGPRsForWavesPerEU: 128
; Occupancy: 8
; WaveLimiterHint : 0
; COMPUTE_PGM_RSRC2:SCRATCH_EN: 1
; COMPUTE_PGM_RSRC2:USER_SGPR: 6
; COMPUTE_PGM_RSRC2:TRAP_HANDLER: 0
; COMPUTE_PGM_RSRC2:TGID_X_EN: 1
; COMPUTE_PGM_RSRC2:TGID_Y_EN: 0
; COMPUTE_PGM_RSRC2:TGID_Z_EN: 0
; COMPUTE_PGM_RSRC2:TIDIG_COMP_CNT: 0
	.section	.text._ZN2at6native12_GLOBAL__N_143conv_depthwise3d_cuda_backward_input_kernelIddLi3ELi3ELi3ELi1ELi1ELi1ELin1ELin1ELin1EEEvN5torch10headeronly6detail27GenericPackedTensorAccessorINS5_14TensorAccessorIN3c108ArrayRefIlEEKT_Lm4ENS4_16DefaultPtrTraitsEiEENS_6detail16IndexBoundsCheckILm5EiEESC_Lm5ESD_iEENS6_INS7_ISA_SB_Lm4ESD_iEESH_SB_Lm5ESD_iEESI_iiiiiiiii,"axG",@progbits,_ZN2at6native12_GLOBAL__N_143conv_depthwise3d_cuda_backward_input_kernelIddLi3ELi3ELi3ELi1ELi1ELi1ELin1ELin1ELin1EEEvN5torch10headeronly6detail27GenericPackedTensorAccessorINS5_14TensorAccessorIN3c108ArrayRefIlEEKT_Lm4ENS4_16DefaultPtrTraitsEiEENS_6detail16IndexBoundsCheckILm5EiEESC_Lm5ESD_iEENS6_INS7_ISA_SB_Lm4ESD_iEESH_SB_Lm5ESD_iEESI_iiiiiiiii,comdat
	.globl	_ZN2at6native12_GLOBAL__N_143conv_depthwise3d_cuda_backward_input_kernelIddLi3ELi3ELi3ELi1ELi1ELi1ELin1ELin1ELin1EEEvN5torch10headeronly6detail27GenericPackedTensorAccessorINS5_14TensorAccessorIN3c108ArrayRefIlEEKT_Lm4ENS4_16DefaultPtrTraitsEiEENS_6detail16IndexBoundsCheckILm5EiEESC_Lm5ESD_iEENS6_INS7_ISA_SB_Lm4ESD_iEESH_SB_Lm5ESD_iEESI_iiiiiiiii ; -- Begin function _ZN2at6native12_GLOBAL__N_143conv_depthwise3d_cuda_backward_input_kernelIddLi3ELi3ELi3ELi1ELi1ELi1ELin1ELin1ELin1EEEvN5torch10headeronly6detail27GenericPackedTensorAccessorINS5_14TensorAccessorIN3c108ArrayRefIlEEKT_Lm4ENS4_16DefaultPtrTraitsEiEENS_6detail16IndexBoundsCheckILm5EiEESC_Lm5ESD_iEENS6_INS7_ISA_SB_Lm4ESD_iEESH_SB_Lm5ESD_iEESI_iiiiiiiii
	.p2align	8
	.type	_ZN2at6native12_GLOBAL__N_143conv_depthwise3d_cuda_backward_input_kernelIddLi3ELi3ELi3ELi1ELi1ELi1ELin1ELin1ELin1EEEvN5torch10headeronly6detail27GenericPackedTensorAccessorINS5_14TensorAccessorIN3c108ArrayRefIlEEKT_Lm4ENS4_16DefaultPtrTraitsEiEENS_6detail16IndexBoundsCheckILm5EiEESC_Lm5ESD_iEENS6_INS7_ISA_SB_Lm4ESD_iEESH_SB_Lm5ESD_iEESI_iiiiiiiii,@function
_ZN2at6native12_GLOBAL__N_143conv_depthwise3d_cuda_backward_input_kernelIddLi3ELi3ELi3ELi1ELi1ELi1ELin1ELin1ELin1EEEvN5torch10headeronly6detail27GenericPackedTensorAccessorINS5_14TensorAccessorIN3c108ArrayRefIlEEKT_Lm4ENS4_16DefaultPtrTraitsEiEENS_6detail16IndexBoundsCheckILm5EiEESC_Lm5ESD_iEENS6_INS7_ISA_SB_Lm4ESD_iEESH_SB_Lm5ESD_iEESI_iiiiiiiii: ; @_ZN2at6native12_GLOBAL__N_143conv_depthwise3d_cuda_backward_input_kernelIddLi3ELi3ELi3ELi1ELi1ELi1ELin1ELin1ELin1EEEvN5torch10headeronly6detail27GenericPackedTensorAccessorINS5_14TensorAccessorIN3c108ArrayRefIlEEKT_Lm4ENS4_16DefaultPtrTraitsEiEENS_6detail16IndexBoundsCheckILm5EiEESC_Lm5ESD_iEENS6_INS7_ISA_SB_Lm4ESD_iEESH_SB_Lm5ESD_iEESI_iiiiiiiii
; %bb.0:
	s_mov_b64 s[102:103], s[2:3]
	s_mov_b64 s[100:101], s[0:1]
	s_clause 0x2
	s_load_dwordx4 s[44:47], s[4:5], 0x38
	s_load_dword s2, s[4:5], 0xc4
	s_load_dwordx2 s[60:61], s[4:5], 0x48
	s_add_u32 s100, s100, s7
	s_addc_u32 s101, s101, 0
                                        ; implicit-def: $vgpr127 : SGPR spill to VGPR lane
	s_waitcnt lgkmcnt(0)
	s_abs_i32 s74, s45
	s_add_u32 s0, s4, 0xb8
	v_cvt_f32_u32_e32 v1, s74
	s_addc_u32 s1, s5, 0
	s_and_b32 s2, s2, 0xffff
	v_rcp_iflag_f32_e32 v2, v1
	v_mov_b32_e32 v1, 0
	v_mad_u64_u32 v[14:15], null, s2, s6, v[0:1]
	s_mul_i32 s6, s61, s44
	v_mul_f32_e32 v2, 0x4f7ffffe, v2
	s_ashr_i32 s7, s6, 31
	v_writelane_b32 v127, s6, 0
	v_cmp_gt_i64_e32 vcc_lo, s[6:7], v[14:15]
	v_cvt_u32_f32_e32 v0, v2
	v_writelane_b32 v127, s7, 1
	v_readfirstlane_b32 s3, v0
	s_and_saveexec_b32 s6, vcc_lo
	s_cbranch_execz .LBB13_62
; %bb.1:
	s_clause 0x2
	s_load_dwordx2 s[8:9], s[4:5], 0xa0
	s_load_dwordx4 s[48:51], s[4:5], 0xc
	s_load_dwordx2 s[66:67], s[4:5], 0x0
	s_sub_i32 s6, 0, s74
	s_load_dword s0, s[0:1], 0x0
	s_mul_i32 s7, s6, s3
	s_clause 0x1
	s_load_dwordx4 s[52:55], s[4:5], 0x90
	s_load_dword s10, s[4:5], 0x7c
	s_mul_hi_u32 s7, s3, s7
	s_ashr_i32 s65, s45, 31
	s_add_i32 s3, s3, s7
	v_mul_lo_u32 v1, s6, v0
	s_clause 0x3
	s_load_dwordx2 s[68:69], s[4:5], 0x1c
	s_load_dwordx2 s[70:71], s[4:5], 0x30
	;; [unrolled: 1-line block ×3, first 2 shown]
	s_load_dwordx4 s[56:59], s[4:5], 0x50
	s_mov_b32 s76, 0
	v_mul_hi_u32 v1, v0, v1
	s_waitcnt lgkmcnt(0)
	v_writelane_b32 v127, s8, 2
	s_abs_i32 s7, s48
	s_mul_hi_u32 s1, s7, s3
	s_ashr_i32 s3, s48, 31
	v_writelane_b32 v127, s9, 3
	s_mul_i32 s8, s1, s74
	s_xor_b32 s3, s3, s65
	s_sub_i32 s7, s7, s8
	s_add_i32 s8, s1, 1
	s_sub_i32 s9, s7, s74
	s_cmp_ge_u32 s7, s74
	v_writelane_b32 v127, s10, 4
	s_cselect_b32 s1, s8, s1
	s_cselect_b32 s7, s9, s7
	s_add_i32 s8, s1, 1
	s_cmp_ge_u32 s7, s74
	s_mul_i32 s0, s0, s2
	s_cselect_b32 s1, s8, s1
	v_writelane_b32 v127, s0, 5
	s_xor_b32 s1, s1, s3
	v_add_nc_u32_e32 v0, v0, v1
	s_sub_i32 s77, s1, s3
	s_cmp_gt_i32 s77, 0
	s_cselect_b32 s0, -1, 0
	s_abs_i32 s80, s60
	s_abs_i32 s83, s52
	v_cvt_f32_u32_e32 v2, s80
	v_cvt_f32_u32_e32 v5, s83
	s_abs_i32 s81, s47
	s_abs_i32 s84, s53
	v_cvt_f32_u32_e32 v3, s81
	v_cvt_f32_u32_e32 v6, s84
	v_rcp_iflag_f32_e32 v2, v2
	v_rcp_iflag_f32_e32 v5, v5
	s_abs_i32 s82, s46
	s_abs_i32 s85, s54
	v_cvt_f32_u32_e32 v4, s82
	v_cvt_f32_u32_e32 v7, s85
	v_rcp_iflag_f32_e32 v3, v3
	v_rcp_iflag_f32_e32 v6, v6
	v_writelane_b32 v127, s0, 6
	v_rcp_iflag_f32_e32 v4, v4
	v_rcp_iflag_f32_e32 v7, v7
	v_mul_f32_e32 v2, 0x4f7ffffe, v2
	v_mul_f32_e32 v5, 0x4f7ffffe, v5
	s_sub_i32 s0, 0, s80
	s_sub_i32 s3, 0, s83
	;; [unrolled: 1-line block ×3, first 2 shown]
	v_mul_f32_e32 v3, 0x4f7ffffe, v3
	v_mul_f32_e32 v6, 0x4f7ffffe, v6
	v_cvt_u32_f32_e32 v2, v2
	v_cvt_u32_f32_e32 v5, v5
	v_mul_f32_e32 v4, 0x4f7ffffe, v4
	v_mul_f32_e32 v7, 0x4f7ffffe, v7
	v_cvt_u32_f32_e32 v3, v3
	v_cvt_u32_f32_e32 v6, v6
	v_mul_lo_u32 v8, s0, v2
	v_mul_lo_u32 v11, s3, v5
	s_sub_i32 s4, 0, s84
	v_cvt_u32_f32_e32 v4, v4
	v_mul_lo_u32 v9, s1, v3
	v_cvt_u32_f32_e32 v7, v7
	v_mul_lo_u32 v12, s4, v6
	s_sub_i32 s2, 0, s82
	s_sub_i32 s0, 0, s85
	v_mul_hi_u32 v8, v2, v8
	v_mul_hi_u32 v11, v5, v11
	v_mul_lo_u32 v10, s2, v4
	v_mul_lo_u32 v13, s0, v7
	v_mul_hi_u32 v9, v3, v9
	v_mul_hi_u32 v12, v6, v12
	s_ashr_i32 s0, s60, 31
	buffer_store_dword v0, off, s[100:103], 0 offset:224 ; 4-byte Folded Spill
	v_writelane_b32 v127, s0, 7
	v_add_nc_u32_e32 v2, v2, v8
	v_add_nc_u32_e32 v0, v5, v11
	v_mul_hi_u32 v10, v4, v10
	v_mul_hi_u32 v13, v7, v13
	s_ashr_i32 s0, s47, 31
	buffer_store_dword v2, off, s[100:103], 0 offset:212 ; 4-byte Folded Spill
	v_writelane_b32 v127, s0, 8
	v_add_nc_u32_e32 v2, v3, v9
	buffer_store_dword v0, off, s[100:103], 0 offset:228 ; 4-byte Folded Spill
	v_add_nc_u32_e32 v0, v6, v12
	s_ashr_i32 s0, s46, 31
	s_ashr_i32 s89, s52, 31
	buffer_store_dword v2, off, s[100:103], 0 offset:216 ; 4-byte Folded Spill
	v_writelane_b32 v127, s0, 9
	v_add_nc_u32_e32 v2, v4, v10
	buffer_store_dword v0, off, s[100:103], 0 offset:232 ; 4-byte Folded Spill
	v_add_nc_u32_e32 v0, v7, v13
	s_ashr_i32 s90, s53, 31
	s_ashr_i32 s91, s54, 31
	buffer_store_dword v2, off, s[100:103], 0 offset:220 ; 4-byte Folded Spill
	buffer_store_dword v0, off, s[100:103], 0 offset:236 ; 4-byte Folded Spill
	s_branch .LBB13_4
.LBB13_2:                               ;   in Loop: Header=BB13_4 Depth=1
	s_or_b32 exec_lo, exec_lo, s92
	s_clause 0x6
	buffer_load_dword v14, off, s[100:103], 0 offset:184
	buffer_load_dword v15, off, s[100:103], 0 offset:188
	buffer_load_dword v7, off, s[100:103], 0 offset:192
	buffer_load_dword v8, off, s[100:103], 0 offset:196
	buffer_load_dword v9, off, s[100:103], 0 offset:200
	buffer_load_dword v11, off, s[100:103], 0 offset:204
	buffer_load_dword v58, off, s[100:103], 0 offset:208
.LBB13_3:                               ;   in Loop: Header=BB13_4 Depth=1
	s_waitcnt vmcnt(1)
	v_mul_lo_u32 v0, v11, s61
	s_waitcnt vmcnt(0)
	v_mul_lo_u32 v2, s56, v58
	v_mul_lo_u32 v4, s57, v9
	v_readlane_b32 s0, v127, 5
	v_mul_lo_u32 v6, s58, v8
	v_mul_lo_u32 v8, s59, v7
	v_add_co_u32 v14, vcc_lo, v14, s0
	v_ashrrev_i32_e32 v1, 31, v0
	v_ashrrev_i32_e32 v3, 31, v2
	v_ashrrev_i32_e32 v5, 31, v4
	v_add_co_ci_u32_e64 v15, null, 0, v15, vcc_lo
	v_lshlrev_b64 v[0:1], 3, v[0:1]
	v_lshlrev_b64 v[2:3], 3, v[2:3]
	v_ashrrev_i32_e32 v7, 31, v6
	v_ashrrev_i32_e32 v9, 31, v8
	v_readlane_b32 s0, v127, 0
	v_readlane_b32 s1, v127, 1
	v_add_co_u32 v10, vcc_lo, s70, v0
	v_add_co_ci_u32_e64 v11, null, s71, v1, vcc_lo
	v_lshlrev_b64 v[0:1], 3, v[4:5]
	v_add_co_u32 v4, vcc_lo, v10, v2
	v_add_co_ci_u32_e64 v5, null, v11, v3, vcc_lo
	v_lshlrev_b64 v[2:3], 3, v[6:7]
	;; [unrolled: 3-line block ×3, first 2 shown]
	v_add_co_u32 v2, vcc_lo, v4, v2
	v_add_co_ci_u32_e64 v3, null, v5, v3, vcc_lo
	v_cmp_le_i64_e32 vcc_lo, s[0:1], v[14:15]
	v_add_co_u32 v0, s0, v2, v0
	v_add_co_ci_u32_e64 v1, null, v3, v1, s0
	s_or_b32 s76, vcc_lo, s76
	global_store_dwordx2 v[0:1], v[60:61], off
	s_andn2_b32 exec_lo, exec_lo, s76
	s_cbranch_execz .LBB13_62
.LBB13_4:                               ; =>This Loop Header: Depth=1
                                        ;     Child Loop BB13_7 Depth 2
	buffer_load_dword v1, off, s[100:103], 0 offset:212 ; 4-byte Folded Reload
	v_sub_nc_u32_e32 v0, 0, v14
	v_readlane_b32 s0, v127, 7
	v_max_i32_e32 v0, v14, v0
	s_waitcnt vmcnt(0)
	v_mul_hi_u32 v1, v0, v1
	v_mul_lo_u32 v2, v1, s80
	v_sub_nc_u32_e32 v0, v0, v2
	v_add_nc_u32_e32 v2, 1, v1
	v_subrev_nc_u32_e32 v3, s80, v0
	v_cmp_le_u32_e32 vcc_lo, s80, v0
	v_cndmask_b32_e32 v1, v1, v2, vcc_lo
	v_cndmask_b32_e32 v0, v0, v3, vcc_lo
	v_ashrrev_i32_e32 v2, 31, v14
	v_add_nc_u32_e32 v3, 1, v1
	v_cmp_le_u32_e32 vcc_lo, s80, v0
	v_xor_b32_e32 v2, s0, v2
	v_readlane_b32 s0, v127, 8
	v_cndmask_b32_e32 v0, v1, v3, vcc_lo
	v_xor_b32_e32 v0, v0, v2
	v_sub_nc_u32_e32 v0, v0, v2
	buffer_load_dword v2, off, s[100:103], 0 offset:216 ; 4-byte Folded Reload
	v_sub_nc_u32_e32 v1, 0, v0
	v_max_i32_e32 v1, v0, v1
	s_waitcnt vmcnt(0)
	v_mul_hi_u32 v2, v1, v2
	v_mul_lo_u32 v3, v2, s81
	v_sub_nc_u32_e32 v1, v1, v3
	v_add_nc_u32_e32 v3, 1, v2
	v_subrev_nc_u32_e32 v4, s81, v1
	v_cmp_le_u32_e32 vcc_lo, s81, v1
	v_cndmask_b32_e32 v2, v2, v3, vcc_lo
	v_cndmask_b32_e32 v1, v1, v4, vcc_lo
	v_ashrrev_i32_e32 v3, 31, v0
	v_add_nc_u32_e32 v4, 1, v2
	v_cmp_le_u32_e32 vcc_lo, s81, v1
	v_xor_b32_e32 v3, s0, v3
	v_readlane_b32 s0, v127, 9
	v_cndmask_b32_e32 v1, v2, v4, vcc_lo
	v_xor_b32_e32 v1, v1, v3
	v_sub_nc_u32_e32 v1, v1, v3
	buffer_load_dword v3, off, s[100:103], 0 offset:220 ; 4-byte Folded Reload
	v_sub_nc_u32_e32 v2, 0, v1
	;; [unrolled: 20-line block ×3, first 2 shown]
	v_max_i32_e32 v3, v2, v3
	s_waitcnt vmcnt(0)
	v_mul_hi_u32 v4, v3, v4
	v_mul_lo_u32 v5, v4, s74
	v_sub_nc_u32_e32 v3, v3, v5
	v_add_nc_u32_e32 v5, 1, v4
	v_subrev_nc_u32_e32 v6, s74, v3
	v_cmp_le_u32_e32 vcc_lo, s74, v3
	v_cndmask_b32_e32 v4, v4, v5, vcc_lo
	v_cndmask_b32_e32 v3, v3, v6, vcc_lo
	v_ashrrev_i32_e32 v5, 31, v2
	v_add_nc_u32_e32 v6, 1, v4
	v_cmp_le_u32_e32 vcc_lo, s74, v3
	v_xor_b32_e32 v5, s65, v5
	v_cndmask_b32_e32 v3, v4, v6, vcc_lo
	v_mul_lo_u32 v4, v1, s47
	s_andn2_b32 vcc_lo, exec_lo, s0
	v_xor_b32_e32 v3, v3, v5
	v_sub_nc_u32_e32 v8, v0, v4
	v_sub_nc_u32_e32 v11, v3, v5
	v_mul_lo_u32 v3, v0, s60
	v_mul_lo_u32 v5, v2, s46
	;; [unrolled: 1-line block ×3, first 2 shown]
	v_sub_nc_u32_e32 v7, v14, v3
	v_sub_nc_u32_e32 v9, v1, v5
	;; [unrolled: 1-line block ×3, first 2 shown]
	s_cbranch_vccnz .LBB13_61
; %bb.5:                                ;   in Loop: Header=BB13_4 Depth=1
	v_mul_lo_u32 v126, v58, s77
	v_readlane_b32 s0, v127, 4
	v_readlane_b32 s2, v127, 2
	;; [unrolled: 1-line block ×3, first 2 shown]
	buffer_store_dword v14, off, s[100:103], 0 offset:184 ; 4-byte Folded Spill
	buffer_store_dword v15, off, s[100:103], 0 offset:188 ; 4-byte Folded Spill
	;; [unrolled: 1-line block ×5, first 2 shown]
	v_mul_lo_u32 v0, s0, v126
	buffer_store_dword v11, off, s[100:103], 0 offset:204 ; 4-byte Folded Spill
	v_mov_b32_e32 v60, 0
	v_mov_b32_e32 v61, 0
	s_mov_b32 s92, 0
	buffer_load_dword v10, off, s[100:103], 0 offset:228 ; 4-byte Folded Reload
	v_ashrrev_i32_e32 v1, 31, v0
	v_lshlrev_b64 v[0:1], 3, v[0:1]
	v_add_co_u32 v2, vcc_lo, s72, v0
	v_add_nc_u32_e32 v0, s3, v7
	buffer_load_dword v7, off, s[100:103], 0 offset:236 ; 4-byte Folded Reload
	v_add_co_ci_u32_e64 v3, null, s73, v1, vcc_lo
	v_add_nc_u32_e32 v1, -1, v0
	v_sub_nc_u32_e32 v4, 1, v0
	v_max_i32_e32 v4, v1, v4
	s_waitcnt vmcnt(0)
	v_mul_hi_u32 v5, v4, v7
	v_mul_lo_u32 v6, v5, s85
	v_sub_nc_u32_e32 v4, v4, v6
	v_add_nc_u32_e32 v6, 1, v5
	v_cmp_le_u32_e32 vcc_lo, s85, v4
	v_cndmask_b32_e32 v5, v5, v6, vcc_lo
	v_subrev_nc_u32_e32 v6, s85, v4
	v_cndmask_b32_e32 v4, v4, v6, vcc_lo
	v_add_nc_u32_e32 v6, 1, v5
	v_cmp_le_u32_e32 vcc_lo, s85, v4
	v_cndmask_b32_e32 v4, v5, v6, vcc_lo
	v_ashrrev_i32_e32 v5, 31, v1
	v_xor_b32_e32 v5, s91, v5
	v_xor_b32_e32 v4, v4, v5
	v_sub_nc_u32_e32 v34, v4, v5
	v_mul_lo_u32 v4, v34, s54
	v_cmp_gt_i32_e64 s43, s51, v34
	v_cmp_eq_u32_e32 vcc_lo, v4, v1
	v_sub_nc_u32_e32 v1, 0, v0
	v_max_i32_e32 v1, v0, v1
	v_mul_hi_u32 v4, v1, v7
	v_mul_lo_u32 v5, v4, s85
	v_sub_nc_u32_e32 v1, v1, v5
	v_add_nc_u32_e32 v5, 1, v4
	v_cmp_le_u32_e64 s0, s85, v1
	v_cndmask_b32_e64 v4, v4, v5, s0
	v_subrev_nc_u32_e32 v5, s85, v1
	v_cndmask_b32_e64 v1, v1, v5, s0
	v_add_nc_u32_e32 v5, 1, v4
	v_cmp_le_u32_e64 s0, s85, v1
	v_cndmask_b32_e64 v1, v4, v5, s0
	v_ashrrev_i32_e32 v4, 31, v0
	v_xor_b32_e32 v4, s91, v4
	v_xor_b32_e32 v1, v1, v4
	v_sub_nc_u32_e32 v35, v1, v4
	v_mul_lo_u32 v1, v35, s54
	v_cmp_gt_i32_e64 s42, s51, v35
	v_cmp_eq_u32_e64 s0, v1, v0
	v_add_nc_u32_e32 v1, -2, v0
	v_sub_nc_u32_e32 v0, 2, v0
	v_max_i32_e32 v0, v1, v0
	v_mul_hi_u32 v4, v0, v7
	buffer_load_dword v7, off, s[100:103], 0 offset:232 ; 4-byte Folded Reload
	v_mul_lo_u32 v5, v4, s85
	v_sub_nc_u32_e32 v0, v0, v5
	v_add_nc_u32_e32 v5, 1, v4
	v_cmp_le_u32_e64 s1, s85, v0
	v_cndmask_b32_e64 v4, v4, v5, s1
	v_subrev_nc_u32_e32 v5, s85, v0
	v_cndmask_b32_e64 v0, v0, v5, s1
	v_add_nc_u32_e32 v5, 1, v4
	v_cmp_le_u32_e64 s1, s85, v0
	v_cndmask_b32_e64 v0, v4, v5, s1
	v_ashrrev_i32_e32 v4, 31, v1
	v_xor_b32_e32 v4, s91, v4
	v_xor_b32_e32 v0, v0, v4
	v_sub_nc_u32_e32 v44, v0, v4
	v_mul_lo_u32 v0, v44, s54
	v_cmp_gt_i32_e64 s44, s51, v44
	v_cmp_eq_u32_e64 s1, v0, v1
	v_add_nc_u32_e32 v1, s2, v8
	v_add_nc_u32_e32 v4, -1, v1
	v_sub_nc_u32_e32 v0, 1, v1
	v_max_i32_e32 v0, v4, v0
	s_waitcnt vmcnt(0)
	v_mul_hi_u32 v5, v0, v7
	v_mul_lo_u32 v6, v5, s84
	v_sub_nc_u32_e32 v0, v0, v6
	v_add_nc_u32_e32 v6, 1, v5
	v_cmp_le_u32_e64 s2, s84, v0
	v_cndmask_b32_e64 v5, v5, v6, s2
	v_subrev_nc_u32_e32 v6, s84, v0
	v_cndmask_b32_e64 v0, v0, v6, s2
	v_add_nc_u32_e32 v6, 1, v5
	v_cmp_le_u32_e64 s2, s84, v0
	v_cndmask_b32_e64 v0, v5, v6, s2
	v_ashrrev_i32_e32 v5, 31, v4
	v_xor_b32_e32 v5, s90, v5
	v_xor_b32_e32 v0, v0, v5
	v_sub_nc_u32_e32 v0, v0, v5
	v_mul_lo_u32 v5, v0, s53
	v_or_b32_e32 v15, v35, v0
	v_or_b32_e32 v16, v34, v0
	v_cmp_gt_i32_e64 s39, s50, v0
	v_cmp_eq_u32_e64 s2, v5, v4
	v_sub_nc_u32_e32 v4, 0, v1
	s_and_b32 s79, s42, s39
	s_and_b32 s75, s43, s39
	s_and_b32 s86, s44, s39
	v_max_i32_e32 v4, v1, v4
	v_mul_hi_u32 v5, v4, v7
	v_mul_lo_u32 v6, v5, s84
	v_sub_nc_u32_e32 v4, v4, v6
	v_add_nc_u32_e32 v6, 1, v5
	v_cmp_le_u32_e64 s3, s84, v4
	v_cndmask_b32_e64 v5, v5, v6, s3
	v_subrev_nc_u32_e32 v6, s84, v4
	v_cndmask_b32_e64 v4, v4, v6, s3
	v_add_nc_u32_e32 v6, 1, v5
	v_cmp_le_u32_e64 s3, s84, v4
	v_cndmask_b32_e64 v4, v5, v6, s3
	v_ashrrev_i32_e32 v5, 31, v1
	v_xor_b32_e32 v5, s90, v5
	v_xor_b32_e32 v4, v4, v5
	v_sub_nc_u32_e32 v4, v4, v5
	v_mul_lo_u32 v5, v4, s53
	v_or_b32_e32 v12, v35, v4
	v_or_b32_e32 v13, v34, v4
	;; [unrolled: 1-line block ×3, first 2 shown]
	v_cmp_gt_i32_e64 s38, s50, v4
	v_cmp_eq_u32_e64 s4, v5, v1
	v_add_nc_u32_e32 v5, -2, v1
	v_sub_nc_u32_e32 v1, 2, v1
	s_and_b32 s63, s42, s38
	s_and_b32 s64, s43, s38
	;; [unrolled: 1-line block ×3, first 2 shown]
	v_max_i32_e32 v1, v5, v1
	v_mul_hi_u32 v6, v1, v7
	v_mul_lo_u32 v7, v6, s84
	v_sub_nc_u32_e32 v1, v1, v7
	v_add_nc_u32_e32 v7, 1, v6
	v_cmp_le_u32_e64 s3, s84, v1
	v_cndmask_b32_e64 v6, v6, v7, s3
	v_subrev_nc_u32_e32 v7, s84, v1
	v_cndmask_b32_e64 v1, v1, v7, s3
	v_add_nc_u32_e32 v7, 1, v6
	v_cmp_le_u32_e64 s3, s84, v1
	v_cndmask_b32_e64 v1, v6, v7, s3
	v_ashrrev_i32_e32 v6, 31, v5
	v_add_nc_u32_e32 v7, s55, v9
	v_xor_b32_e32 v6, s90, v6
	v_xor_b32_e32 v1, v1, v6
	v_sub_nc_u32_e32 v1, v1, v6
	v_mul_lo_u32 v6, v1, s53
	v_cmp_gt_i32_e64 s41, s50, v1
	s_and_b32 s87, s42, s41
	s_and_b32 s88, s43, s41
	v_cmp_eq_u32_e64 s3, v6, v5
	v_add_nc_u32_e32 v6, -1, v7
	v_sub_nc_u32_e32 v5, 1, v7
	s_and_b32 s62, s44, s41
	v_max_i32_e32 v5, v6, v5
	v_mul_hi_u32 v8, v5, v10
	v_mul_lo_u32 v9, v8, s83
	v_sub_nc_u32_e32 v5, v5, v9
	v_add_nc_u32_e32 v9, 1, v8
	v_cmp_le_u32_e64 s5, s83, v5
	v_cndmask_b32_e64 v8, v8, v9, s5
	v_subrev_nc_u32_e32 v9, s83, v5
	v_cndmask_b32_e64 v5, v5, v9, s5
	v_add_nc_u32_e32 v9, 1, v8
	v_cmp_le_u32_e64 s5, s83, v5
	v_cndmask_b32_e64 v5, v8, v9, s5
	v_ashrrev_i32_e32 v8, 31, v6
	v_xor_b32_e32 v8, s89, v8
	v_xor_b32_e32 v5, v5, v8
	v_sub_nc_u32_e32 v5, v5, v8
	v_mul_lo_u32 v8, v5, s52
	v_cmp_gt_i32_e64 s40, s49, v5
	v_cmp_eq_u32_e64 s20, v8, v6
	v_sub_nc_u32_e32 v6, 0, v7
	v_max_i32_e32 v6, v7, v6
	v_mul_hi_u32 v8, v6, v10
	v_mul_lo_u32 v9, v8, s83
	v_sub_nc_u32_e32 v6, v6, v9
	v_add_nc_u32_e32 v9, 1, v8
	v_cmp_le_u32_e64 s5, s83, v6
	v_cndmask_b32_e64 v8, v8, v9, s5
	v_subrev_nc_u32_e32 v9, s83, v6
	v_cndmask_b32_e64 v6, v6, v9, s5
	v_add_nc_u32_e32 v9, 1, v8
	v_cmp_le_u32_e64 s5, s83, v6
	v_cndmask_b32_e64 v6, v8, v9, s5
	v_ashrrev_i32_e32 v8, 31, v7
	v_xor_b32_e32 v8, s89, v8
	v_xor_b32_e32 v6, v6, v8
	v_sub_nc_u32_e32 v6, v6, v8
	v_mul_lo_u32 v8, v6, s52
	v_cmp_gt_i32_e64 s37, s49, v6
	v_cmp_eq_u32_e64 s11, v8, v7
	v_add_nc_u32_e32 v8, -2, v7
	v_sub_nc_u32_e32 v7, 2, v7
	s_and_b32 s48, s11, s4
	v_max_i32_e32 v7, v8, v7
	v_mul_hi_u32 v9, v7, v10
	v_mul_lo_u32 v10, v9, s83
	v_sub_nc_u32_e32 v7, v7, v10
	v_add_nc_u32_e32 v10, 1, v9
	v_cmp_le_u32_e64 s5, s83, v7
	v_cndmask_b32_e64 v9, v9, v10, s5
	v_subrev_nc_u32_e32 v10, s83, v7
	v_cndmask_b32_e64 v7, v7, v10, s5
	v_add_nc_u32_e32 v10, 1, v9
	v_cmp_le_u32_e64 s5, s83, v7
	v_cndmask_b32_e64 v7, v9, v10, s5
	v_ashrrev_i32_e32 v9, 31, v8
	v_xor_b32_e32 v9, s89, v9
	v_xor_b32_e32 v7, v7, v9
	v_sub_nc_u32_e32 v7, v7, v9
	v_mul_lo_u32 v9, v7, s52
	v_cmp_gt_i32_e64 s28, s49, v7
	v_cmp_eq_u32_e64 s23, v9, v8
	v_mul_lo_u32 v8, s68, v11
	v_or_b32_e32 v11, v44, v0
	v_ashrrev_i32_e32 v9, 31, v8
	v_lshlrev_b64 v[8:9], 3, v[8:9]
	v_add_co_u32 v8, s5, s66, v8
	buffer_store_dword v8, off, s[100:103], 0 ; 4-byte Folded Spill
	v_add_co_ci_u32_e64 v8, null, s67, v9, s5
	buffer_store_dword v8, off, s[100:103], 0 offset:4 ; 4-byte Folded Spill
	v_or_b32_e32 v8, v12, v6
	v_cmp_lt_i32_e64 s7, -1, v8
	v_or_b32_e32 v8, v13, v6
	s_and_b32 s7, s63, s7
	v_cmp_lt_i32_e64 s5, -1, v8
	v_or_b32_e32 v8, v14, v6
	s_and_b32 s93, s7, s37
	s_and_b32 s7, s64, s5
	v_cmp_lt_i32_e64 s6, -1, v8
	v_or_b32_e32 v8, v15, v6
	s_and_b32 s94, s7, s37
	s_and_b32 s5, s48, s0
	;; [unrolled: 1-line block ×3, first 2 shown]
	v_cmp_lt_i32_e64 s10, -1, v8
	v_or_b32_e32 v8, v16, v6
	s_and_b32 s6, s48, vcc_lo
	s_and_b32 s38, s7, s37
	s_and_b32 s7, s48, s1
	;; [unrolled: 1-line block ×3, first 2 shown]
	v_cmp_lt_i32_e64 s8, -1, v8
	v_or_b32_e32 v8, v11, v6
	s_and_b32 s95, s10, s37
	s_and_b32 s48, s11, s2
	;; [unrolled: 1-line block ×3, first 2 shown]
	v_cmp_lt_i32_e64 s9, -1, v8
	v_or_b32_e32 v8, v35, v1
	s_and_b32 s96, s10, s37
	s_and_b32 s8, s48, s0
	;; [unrolled: 1-line block ×3, first 2 shown]
	v_or_b32_e32 v9, v8, v6
	s_and_b32 s9, s48, vcc_lo
	s_and_b32 s39, s10, s37
	s_and_b32 s10, s48, s1
	;; [unrolled: 1-line block ×3, first 2 shown]
	v_cmp_lt_i32_e64 s25, -1, v9
	v_or_b32_e32 v9, v34, v1
	s_and_b32 s11, s48, s0
	s_and_b32 s25, s87, s25
	v_or_b32_e32 v10, v9, v6
	s_and_b32 s42, s25, s37
	s_and_b32 s25, s20, s4
	v_cmp_lt_i32_e64 s12, -1, v10
	v_or_b32_e32 v10, v44, v1
	s_and_b32 s12, s88, s12
	v_or_b32_e32 v17, v10, v6
	v_mul_lo_u32 v6, v6, s50
	s_and_b32 s43, s12, s37
	s_and_b32 s12, s48, vcc_lo
	v_cmp_lt_i32_e64 s13, -1, v17
	v_or_b32_e32 v17, v12, v5
	v_or_b32_e32 v12, v12, v7
	s_and_b32 s13, s62, s13
	v_cmp_lt_i32_e64 s16, -1, v17
	v_or_b32_e32 v17, v13, v5
	v_cmp_lt_i32_e64 s34, -1, v12
	v_or_b32_e32 v12, v13, v7
	s_and_b32 s37, s13, s37
	s_and_b32 s16, s63, s16
	v_cmp_lt_i32_e64 s14, -1, v17
	v_or_b32_e32 v17, v14, v5
	v_cmp_lt_i32_e64 s36, -1, v12
	v_or_b32_e32 v12, v14, v7
	v_add_nc_u32_e32 v14, v1, v6
	s_and_b32 s41, s16, s40
	v_cmp_lt_i32_e64 s15, -1, v17
	v_or_b32_e32 v17, v15, v5
	v_cmp_lt_i32_e64 s24, -1, v12
	v_or_b32_e32 v12, v15, v7
	s_and_b32 s16, s64, s14
	s_and_b32 s14, s25, s0
	v_cmp_lt_i32_e64 s19, -1, v17
	v_or_b32_e32 v17, v16, v5
	v_cmp_lt_i32_e64 s26, -1, v12
	v_or_b32_e32 v12, v16, v7
	s_and_b32 s44, s16, s40
	s_and_b32 s19, s79, s19
	v_cmp_lt_i32_e64 s17, -1, v17
	v_or_b32_e32 v17, v11, v5
	v_or_b32_e32 v11, v11, v7
	v_cmp_lt_i32_e64 s27, -1, v12
	v_add_nc_u32_e32 v12, v0, v6
	s_and_b32 s16, s78, s15
	v_cmp_lt_i32_e64 s18, -1, v17
	v_or_b32_e32 v17, v8, v5
	v_or_b32_e32 v8, v8, v7
	v_cmp_lt_i32_e64 s29, -1, v11
	v_add_nc_u32_e32 v11, v4, v6
	s_and_b32 s98, s19, s40
	v_cmp_lt_i32_e64 s22, -1, v17
	v_or_b32_e32 v17, v9, v5
	v_or_b32_e32 v9, v9, v7
	v_cmp_lt_i32_e64 s31, -1, v8
	s_and_b32 s19, s75, s17
	s_and_b32 s15, s25, vcc_lo
	v_cmp_lt_i32_e64 s21, -1, v17
	v_or_b32_e32 v17, v10, v5
	v_mul_lo_u32 v5, v5, s50
	v_or_b32_e32 v10, v10, v7
	v_mul_lo_u32 v7, v7, s50
	v_cmp_lt_i32_e64 s33, -1, v9
	v_cmp_lt_i32_e64 s30, -1, v17
	s_and_b32 s97, s16, s40
	v_cmp_lt_i32_e64 s35, -1, v10
	s_and_b32 s16, s25, s1
	v_add_nc_u32_e32 v26, v0, v5
	v_add_nc_u32_e32 v20, v4, v5
	;; [unrolled: 1-line block ×3, first 2 shown]
	v_mul_lo_u32 v0, v11, s51
	v_add_nc_u32_e32 v38, v4, v7
	v_add_nc_u32_e32 v32, v1, v5
	;; [unrolled: 1-line block ×3, first 2 shown]
	v_mul_lo_u32 v1, v12, s51
	v_mul_lo_u32 v45, v45, s51
	;; [unrolled: 1-line block ×4, first 2 shown]
	v_add_nc_u32_e32 v4, v35, v0
	v_add_nc_u32_e32 v6, v34, v0
	;; [unrolled: 1-line block ×3, first 2 shown]
	v_mul_lo_u32 v0, v14, s51
	v_add_nc_u32_e32 v10, v35, v1
	v_ashrrev_i32_e32 v5, 31, v4
	v_ashrrev_i32_e32 v7, 31, v6
	;; [unrolled: 1-line block ×3, first 2 shown]
	v_add_nc_u32_e32 v12, v34, v1
	v_ashrrev_i32_e32 v11, 31, v10
	v_lshlrev_b64 v[4:5], 3, v[4:5]
	buffer_store_dword v4, off, s[100:103], 0 offset:8 ; 4-byte Folded Spill
	buffer_store_dword v5, off, s[100:103], 0 offset:12 ; 4-byte Folded Spill
	v_lshlrev_b64 v[4:5], 3, v[6:7]
	buffer_store_dword v4, off, s[100:103], 0 offset:16 ; 4-byte Folded Spill
	buffer_store_dword v5, off, s[100:103], 0 offset:20 ; 4-byte Folded Spill
	;; [unrolled: 3-line block ×3, first 2 shown]
	v_lshlrev_b64 v[4:5], 3, v[10:11]
	v_ashrrev_i32_e32 v13, 31, v12
	v_add_nc_u32_e32 v14, v44, v1
	buffer_store_dword v4, off, s[100:103], 0 offset:32 ; 4-byte Folded Spill
	buffer_store_dword v5, off, s[100:103], 0 offset:36 ; 4-byte Folded Spill
	v_lshlrev_b64 v[4:5], 3, v[12:13]
	v_ashrrev_i32_e32 v15, 31, v14
	v_add_nc_u32_e32 v16, v35, v0
	buffer_store_dword v4, off, s[100:103], 0 offset:40 ; 4-byte Folded Spill
	buffer_store_dword v5, off, s[100:103], 0 offset:44 ; 4-byte Folded Spill
	;; [unrolled: 5-line block ×3, first 2 shown]
	v_lshlrev_b64 v[4:5], 3, v[16:17]
	v_ashrrev_i32_e32 v19, 31, v18
	v_mul_lo_u32 v1, v20, s51
	v_add_nc_u32_e32 v20, v44, v0
	buffer_store_dword v4, off, s[100:103], 0 offset:56 ; 4-byte Folded Spill
	buffer_store_dword v5, off, s[100:103], 0 offset:60 ; 4-byte Folded Spill
	v_lshlrev_b64 v[4:5], 3, v[18:19]
	v_ashrrev_i32_e32 v21, 31, v20
	buffer_store_dword v4, off, s[100:103], 0 offset:64 ; 4-byte Folded Spill
	buffer_store_dword v5, off, s[100:103], 0 offset:68 ; 4-byte Folded Spill
	v_add_nc_u32_e32 v22, v35, v1
	v_lshlrev_b64 v[4:5], 3, v[20:21]
	v_add_nc_u32_e32 v24, v34, v1
	buffer_store_dword v4, off, s[100:103], 0 offset:72 ; 4-byte Folded Spill
	buffer_store_dword v5, off, s[100:103], 0 offset:76 ; 4-byte Folded Spill
	v_ashrrev_i32_e32 v23, 31, v22
	v_ashrrev_i32_e32 v25, 31, v24
	v_mul_lo_u32 v0, v26, s51
	v_add_nc_u32_e32 v26, v44, v1
	v_add_nc_u32_e32 v36, v34, v39
	v_lshlrev_b64 v[4:5], 3, v[22:23]
	buffer_store_dword v4, off, s[100:103], 0 offset:80 ; 4-byte Folded Spill
	buffer_store_dword v5, off, s[100:103], 0 offset:84 ; 4-byte Folded Spill
	v_lshlrev_b64 v[4:5], 3, v[24:25]
	v_ashrrev_i32_e32 v27, 31, v26
	v_add_nc_u32_e32 v28, v35, v0
	buffer_store_dword v4, off, s[100:103], 0 offset:88 ; 4-byte Folded Spill
	buffer_store_dword v5, off, s[100:103], 0 offset:92 ; 4-byte Folded Spill
	v_lshlrev_b64 v[4:5], 3, v[26:27]
	v_ashrrev_i32_e32 v29, 31, v28
	v_add_nc_u32_e32 v30, v34, v0
	;; [unrolled: 5-line block ×3, first 2 shown]
	v_add_nc_u32_e32 v0, v35, v39
	buffer_store_dword v4, off, s[100:103], 0 offset:104 ; 4-byte Folded Spill
	buffer_store_dword v5, off, s[100:103], 0 offset:108 ; 4-byte Folded Spill
	v_lshlrev_b64 v[4:5], 3, v[30:31]
	v_ashrrev_i32_e32 v33, 31, v32
	v_ashrrev_i32_e32 v1, 31, v0
	buffer_store_dword v4, off, s[100:103], 0 offset:112 ; 4-byte Folded Spill
	buffer_store_dword v5, off, s[100:103], 0 offset:116 ; 4-byte Folded Spill
	v_lshlrev_b64 v[4:5], 3, v[32:33]
	v_lshlrev_b64 v[0:1], 3, v[0:1]
	v_ashrrev_i32_e32 v37, 31, v36
	v_add_nc_u32_e32 v38, v44, v39
	buffer_store_dword v4, off, s[100:103], 0 offset:120 ; 4-byte Folded Spill
	buffer_store_dword v5, off, s[100:103], 0 offset:124 ; 4-byte Folded Spill
	;; [unrolled: 1-line block ×4, first 2 shown]
	v_lshlrev_b64 v[0:1], 3, v[36:37]
	v_ashrrev_i32_e32 v39, 31, v38
	v_add_nc_u32_e32 v40, v35, v47
	buffer_store_dword v0, off, s[100:103], 0 offset:136 ; 4-byte Folded Spill
	buffer_store_dword v1, off, s[100:103], 0 offset:140 ; 4-byte Folded Spill
	v_lshlrev_b64 v[0:1], 3, v[38:39]
	v_ashrrev_i32_e32 v41, 31, v40
	v_add_nc_u32_e32 v42, v34, v47
	buffer_store_dword v0, off, s[100:103], 0 offset:144 ; 4-byte Folded Spill
	buffer_store_dword v1, off, s[100:103], 0 offset:148 ; 4-byte Folded Spill
	;; [unrolled: 5-line block ×3, first 2 shown]
	v_lshlrev_b64 v[0:1], 3, v[42:43]
	v_ashrrev_i32_e32 v48, 31, v47
	v_add_nc_u32_e32 v49, v35, v45
	v_mul_lo_u32 v55, v46, s51
	s_and_b32 s25, s20, s2
	s_and_b32 s99, s19, s40
	s_and_b32 s19, s86, s18
	s_and_b32 s22, s87, s22
	buffer_store_dword v0, off, s[100:103], 0 offset:160 ; 4-byte Folded Spill
	buffer_store_dword v1, off, s[100:103], 0 offset:164 ; 4-byte Folded Spill
	v_lshlrev_b64 v[0:1], 3, v[47:48]
	s_and_b32 s17, s25, s0
	s_and_b32 s18, s25, vcc_lo
	s_and_b32 s104, s19, s40
	s_and_b32 s19, s25, s1
	;; [unrolled: 1-line block ×3, first 2 shown]
	s_and_b32 vcc_hi, s22, s40
	s_and_b32 s21, s88, s21
	s_and_b32 s22, s62, s30
	v_ashrrev_i32_e32 v50, 31, v49
	s_and_b32 s13, s48, s1
	s_and_b32 s20, s25, s0
	;; [unrolled: 1-line block ×3, first 2 shown]
	s_and_b32 s21, s25, vcc_lo
	s_and_b32 s30, s22, s40
	s_and_b32 s22, s25, s1
	;; [unrolled: 1-line block ×3, first 2 shown]
	v_add_nc_u32_e32 v51, v34, v45
	s_and_b32 s34, s25, s28
	s_and_b32 s25, s64, s36
	v_add_nc_u32_e32 v45, v44, v45
	v_add_nc_u32_e32 v53, v35, v55
	;; [unrolled: 1-line block ×4, first 2 shown]
	buffer_store_dword v0, off, s[100:103], 0 offset:168 ; 4-byte Folded Spill
	buffer_store_dword v1, off, s[100:103], 0 offset:172 ; 4-byte Folded Spill
	s_and_b32 s63, s23, s4
	s_and_b32 s36, s25, s28
	;; [unrolled: 1-line block ×4, first 2 shown]
	v_lshlrev_b64 v[0:1], 3, v[49:50]
	s_and_b32 s4, s63, s0
	s_and_b32 s24, s63, vcc_lo
	s_and_b32 s40, s25, s28
	s_and_b32 s25, s63, s1
	s_and_b32 s63, s23, s2
	s_and_b32 s78, s26, s28
	s_and_b32 s26, s75, s27
	s_and_b32 s27, s86, s29
	s_and_b32 s3, s23, s3
	v_ashrrev_i32_e32 v52, 31, v51
	v_ashrrev_i32_e32 v46, 31, v45
	v_ashrrev_i32_e32 v54, 31, v53
	v_ashrrev_i32_e32 v35, 31, v34
	v_ashrrev_i32_e32 v57, 31, v56
	s_and_b32 s2, s63, s0
	s_and_b32 s79, s26, s28
	s_and_b32 s26, s63, vcc_lo
	s_and_b32 s29, s27, s28
	s_and_b32 s27, s63, s1
	;; [unrolled: 1-line block ×3, first 2 shown]
	s_and_b32 vcc_lo, s3, vcc_lo
	s_and_b32 s1, s3, s1
	s_mul_i32 s3, s69, s77
	buffer_store_dword v0, off, s[100:103], 0 offset:176 ; 4-byte Folded Spill
	buffer_store_dword v1, off, s[100:103], 0 offset:180 ; 4-byte Folded Spill
	;; [unrolled: 1-line block ×3, first 2 shown]
	v_mul_lo_u32 v58, s3, v58
	s_and_b32 s31, s87, s31
	v_lshlrev_b64 v[48:49], 3, v[51:52]
	v_lshlrev_b64 v[50:51], 3, v[45:46]
	;; [unrolled: 1-line block ×5, first 2 shown]
	v_add_nc_u32_e32 v46, s77, v126
	s_and_b32 s23, s31, s28
	s_and_b32 s31, s88, s33
	;; [unrolled: 1-line block ×5, first 2 shown]
	s_branch .LBB13_7
.LBB13_6:                               ;   in Loop: Header=BB13_7 Depth=2
	s_or_b32 exec_lo, exec_lo, s33
	s_waitcnt vmcnt(26)
	v_fma_f64 v[62:63], v[62:63], v[64:65], v[60:61]
	v_add_nc_u32_e32 v126, 1, v126
	v_add_co_u32 v2, s3, 0xd8, v2
	v_add_co_ci_u32_e64 v3, null, 0, v3, s3
	v_cmp_ge_i32_e64 s3, v126, v46
	v_add_nc_u32_e32 v58, s69, v58
	s_or_b32 s92, s3, s92
	v_cndmask_b32_e64 v61, v61, v63, s5
	v_cndmask_b32_e64 v60, v60, v62, s5
	s_waitcnt vmcnt(25)
	v_fma_f64 v[62:63], v[66:67], v[70:71], v[60:61]
	v_cndmask_b32_e64 v61, v61, v63, s6
	v_cndmask_b32_e64 v60, v60, v62, s6
	s_waitcnt vmcnt(24)
	v_fma_f64 v[62:63], v[72:73], v[68:69], v[60:61]
	;; [unrolled: 4-line block ×25, first 2 shown]
	v_cndmask_b32_e32 v1, v1, v5, vcc_lo
	v_cndmask_b32_e32 v0, v0, v4, vcc_lo
	s_waitcnt vmcnt(0)
	v_fma_f64 v[4:5], v[44:45], v[40:41], v[0:1]
	v_cndmask_b32_e64 v61, v1, v5, s1
	v_cndmask_b32_e64 v60, v0, v4, s1
	s_andn2_b32 exec_lo, exec_lo, s92
	s_cbranch_execz .LBB13_2
.LBB13_7:                               ;   Parent Loop BB13_4 Depth=1
                                        ; =>  This Inner Loop Header: Depth=2
	buffer_load_dword v4, off, s[100:103], 0 ; 4-byte Folded Reload
	v_ashrrev_i32_e32 v59, 31, v58
	global_load_dwordx2 v[62:63], v[2:3], off
	v_mov_b32_e32 v64, 0
	v_mov_b32_e32 v65, 0
	v_lshlrev_b64 v[0:1], 3, v[58:59]
	s_waitcnt vmcnt(1)
	v_add_co_u32 v47, s3, v4, v0
	buffer_load_dword v0, off, s[100:103], 0 offset:4 ; 4-byte Folded Reload
	s_waitcnt vmcnt(0)
	v_add_co_ci_u32_e64 v59, null, v0, v1, s3
	s_and_saveexec_b32 s33, s93
	s_cbranch_execz .LBB13_9
; %bb.8:                                ;   in Loop: Header=BB13_7 Depth=2
	s_clause 0x1
	buffer_load_dword v0, off, s[100:103], 0 offset:8
	buffer_load_dword v1, off, s[100:103], 0 offset:12
	s_waitcnt vmcnt(1)
	v_add_co_u32 v0, s3, v47, v0
	s_waitcnt vmcnt(0)
	v_add_co_ci_u32_e64 v1, null, v59, v1, s3
	global_load_dwordx2 v[64:65], v[0:1], off
.LBB13_9:                               ;   in Loop: Header=BB13_7 Depth=2
	s_or_b32 exec_lo, exec_lo, s33
	global_load_dwordx2 v[66:67], v[2:3], off offset:8
	v_mov_b32_e32 v68, 0
	v_mov_b32_e32 v70, 0
	v_mov_b32_e32 v69, 0
	v_mov_b32_e32 v71, 0
	s_and_saveexec_b32 s33, s94
	s_cbranch_execz .LBB13_11
; %bb.10:                               ;   in Loop: Header=BB13_7 Depth=2
	s_clause 0x1
	buffer_load_dword v0, off, s[100:103], 0 offset:16
	buffer_load_dword v1, off, s[100:103], 0 offset:20
	s_waitcnt vmcnt(1)
	v_add_co_u32 v0, s3, v47, v0
	s_waitcnt vmcnt(0)
	v_add_co_ci_u32_e64 v1, null, v59, v1, s3
	global_load_dwordx2 v[70:71], v[0:1], off
.LBB13_11:                              ;   in Loop: Header=BB13_7 Depth=2
	s_or_b32 exec_lo, exec_lo, s33
	global_load_dwordx2 v[72:73], v[2:3], off offset:16
	s_and_saveexec_b32 s33, s38
	s_cbranch_execz .LBB13_13
; %bb.12:                               ;   in Loop: Header=BB13_7 Depth=2
	s_clause 0x1
	buffer_load_dword v0, off, s[100:103], 0 offset:24
	buffer_load_dword v1, off, s[100:103], 0 offset:28
	s_waitcnt vmcnt(1)
	v_add_co_u32 v0, s3, v47, v0
	s_waitcnt vmcnt(0)
	v_add_co_ci_u32_e64 v1, null, v59, v1, s3
	global_load_dwordx2 v[68:69], v[0:1], off
.LBB13_13:                              ;   in Loop: Header=BB13_7 Depth=2
	s_or_b32 exec_lo, exec_lo, s33
	global_load_dwordx2 v[74:75], v[2:3], off offset:24
	v_mov_b32_e32 v76, 0
	v_mov_b32_e32 v78, 0
	v_mov_b32_e32 v77, 0
	v_mov_b32_e32 v79, 0
	s_and_saveexec_b32 s33, s95
	s_cbranch_execz .LBB13_15
; %bb.14:                               ;   in Loop: Header=BB13_7 Depth=2
	s_clause 0x1
	buffer_load_dword v0, off, s[100:103], 0 offset:32
	buffer_load_dword v1, off, s[100:103], 0 offset:36
	s_waitcnt vmcnt(1)
	v_add_co_u32 v0, s3, v47, v0
	s_waitcnt vmcnt(0)
	v_add_co_ci_u32_e64 v1, null, v59, v1, s3
	global_load_dwordx2 v[78:79], v[0:1], off
.LBB13_15:                              ;   in Loop: Header=BB13_7 Depth=2
	s_or_b32 exec_lo, exec_lo, s33
	global_load_dwordx2 v[80:81], v[2:3], off offset:32
	s_and_saveexec_b32 s33, s96
	s_cbranch_execz .LBB13_17
; %bb.16:                               ;   in Loop: Header=BB13_7 Depth=2
	s_clause 0x1
	buffer_load_dword v0, off, s[100:103], 0 offset:40
	buffer_load_dword v1, off, s[100:103], 0 offset:44
	s_waitcnt vmcnt(1)
	v_add_co_u32 v0, s3, v47, v0
	s_waitcnt vmcnt(0)
	v_add_co_ci_u32_e64 v1, null, v59, v1, s3
	global_load_dwordx2 v[76:77], v[0:1], off
.LBB13_17:                              ;   in Loop: Header=BB13_7 Depth=2
	;; [unrolled: 32-line block ×7, first 2 shown]
	s_or_b32 exec_lo, exec_lo, s33
	global_load_dwordx2 v[122:123], v[2:3], off offset:120
	v_mov_b32_e32 v124, 0
	v_mov_b32_e32 v0, 0
	;; [unrolled: 1-line block ×4, first 2 shown]
	s_and_saveexec_b32 s33, vcc_hi
	s_cbranch_execz .LBB13_39
; %bb.38:                               ;   in Loop: Header=BB13_7 Depth=2
	s_clause 0x1
	buffer_load_dword v0, off, s[100:103], 0 offset:128
	buffer_load_dword v1, off, s[100:103], 0 offset:132
	s_waitcnt vmcnt(1)
	v_add_co_u32 v0, s3, v47, v0
	s_waitcnt vmcnt(0)
	v_add_co_ci_u32_e64 v1, null, v59, v1, s3
	global_load_dwordx2 v[0:1], v[0:1], off
.LBB13_39:                              ;   in Loop: Header=BB13_7 Depth=2
	s_or_b32 exec_lo, exec_lo, s33
	global_load_dwordx2 v[4:5], v[2:3], off offset:128
	s_and_saveexec_b32 s33, s48
	s_cbranch_execz .LBB13_41
; %bb.40:                               ;   in Loop: Header=BB13_7 Depth=2
	s_clause 0x1
	buffer_load_dword v6, off, s[100:103], 0 offset:136
	buffer_load_dword v7, off, s[100:103], 0 offset:140
	s_waitcnt vmcnt(1)
	v_add_co_u32 v6, s3, v47, v6
	s_waitcnt vmcnt(0)
	v_add_co_ci_u32_e64 v7, null, v59, v7, s3
	global_load_dwordx2 v[124:125], v[6:7], off
.LBB13_41:                              ;   in Loop: Header=BB13_7 Depth=2
	s_or_b32 exec_lo, exec_lo, s33
	global_load_dwordx2 v[6:7], v[2:3], off offset:136
	v_mov_b32_e32 v8, 0
	v_mov_b32_e32 v10, 0
	v_mov_b32_e32 v9, 0
	v_mov_b32_e32 v11, 0
	s_and_saveexec_b32 s33, s30
	s_cbranch_execz .LBB13_43
; %bb.42:                               ;   in Loop: Header=BB13_7 Depth=2
	s_clause 0x1
	buffer_load_dword v10, off, s[100:103], 0 offset:144
	buffer_load_dword v11, off, s[100:103], 0 offset:148
	s_waitcnt vmcnt(1)
	v_add_co_u32 v10, s3, v47, v10
	s_waitcnt vmcnt(0)
	v_add_co_ci_u32_e64 v11, null, v59, v11, s3
	global_load_dwordx2 v[10:11], v[10:11], off
.LBB13_43:                              ;   in Loop: Header=BB13_7 Depth=2
	s_or_b32 exec_lo, exec_lo, s33
	global_load_dwordx2 v[12:13], v[2:3], off offset:144
	s_and_saveexec_b32 s33, s34
	s_cbranch_execz .LBB13_45
; %bb.44:                               ;   in Loop: Header=BB13_7 Depth=2
	s_clause 0x1
	buffer_load_dword v8, off, s[100:103], 0 offset:152
	buffer_load_dword v9, off, s[100:103], 0 offset:156
	s_waitcnt vmcnt(1)
	v_add_co_u32 v8, s3, v47, v8
	s_waitcnt vmcnt(0)
	v_add_co_ci_u32_e64 v9, null, v59, v9, s3
	global_load_dwordx2 v[8:9], v[8:9], off
.LBB13_45:                              ;   in Loop: Header=BB13_7 Depth=2
	s_or_b32 exec_lo, exec_lo, s33
	global_load_dwordx2 v[14:15], v[2:3], off offset:152
	v_mov_b32_e32 v16, 0
	v_mov_b32_e32 v18, 0
	v_mov_b32_e32 v17, 0
	v_mov_b32_e32 v19, 0
	s_and_saveexec_b32 s33, s36
	;; [unrolled: 32-line block ×3, first 2 shown]
	s_cbranch_execz .LBB13_51
; %bb.50:                               ;   in Loop: Header=BB13_7 Depth=2
	s_clause 0x1
	buffer_load_dword v26, off, s[100:103], 0 offset:176
	buffer_load_dword v27, off, s[100:103], 0 offset:180
	s_waitcnt vmcnt(1)
	v_add_co_u32 v26, s3, v47, v26
	s_waitcnt vmcnt(0)
	v_add_co_ci_u32_e64 v27, null, v59, v27, s3
	global_load_dwordx2 v[26:27], v[26:27], off
.LBB13_51:                              ;   in Loop: Header=BB13_7 Depth=2
	s_or_b32 exec_lo, exec_lo, s33
	global_load_dwordx2 v[28:29], v[2:3], off offset:176
	s_and_saveexec_b32 s33, s79
	s_cbranch_execz .LBB13_53
; %bb.52:                               ;   in Loop: Header=BB13_7 Depth=2
	v_add_co_u32 v24, s3, v47, v48
	v_add_co_ci_u32_e64 v25, null, v59, v49, s3
	global_load_dwordx2 v[24:25], v[24:25], off
.LBB13_53:                              ;   in Loop: Header=BB13_7 Depth=2
	s_or_b32 exec_lo, exec_lo, s33
	global_load_dwordx2 v[30:31], v[2:3], off offset:184
	v_mov_b32_e32 v32, 0
	v_mov_b32_e32 v34, 0
	;; [unrolled: 1-line block ×4, first 2 shown]
	s_and_saveexec_b32 s33, s29
	s_cbranch_execz .LBB13_55
; %bb.54:                               ;   in Loop: Header=BB13_7 Depth=2
	v_add_co_u32 v34, s3, v47, v50
	v_add_co_ci_u32_e64 v35, null, v59, v51, s3
	global_load_dwordx2 v[34:35], v[34:35], off
.LBB13_55:                              ;   in Loop: Header=BB13_7 Depth=2
	s_or_b32 exec_lo, exec_lo, s33
	global_load_dwordx2 v[36:37], v[2:3], off offset:192
	s_and_saveexec_b32 s33, s23
	s_cbranch_execz .LBB13_57
; %bb.56:                               ;   in Loop: Header=BB13_7 Depth=2
	v_add_co_u32 v32, s3, v47, v52
	v_add_co_ci_u32_e64 v33, null, v59, v53, s3
	global_load_dwordx2 v[32:33], v[32:33], off
.LBB13_57:                              ;   in Loop: Header=BB13_7 Depth=2
	s_or_b32 exec_lo, exec_lo, s33
	global_load_dwordx2 v[38:39], v[2:3], off offset:200
	v_mov_b32_e32 v40, 0
	v_mov_b32_e32 v42, 0
	;; [unrolled: 1-line block ×4, first 2 shown]
	s_and_saveexec_b32 s33, s31
	s_cbranch_execz .LBB13_59
; %bb.58:                               ;   in Loop: Header=BB13_7 Depth=2
	v_add_co_u32 v42, s3, v47, v54
	v_add_co_ci_u32_e64 v43, null, v59, v55, s3
	global_load_dwordx2 v[42:43], v[42:43], off
.LBB13_59:                              ;   in Loop: Header=BB13_7 Depth=2
	s_or_b32 exec_lo, exec_lo, s33
	global_load_dwordx2 v[44:45], v[2:3], off offset:208
	s_and_saveexec_b32 s33, s28
	s_cbranch_execz .LBB13_6
; %bb.60:                               ;   in Loop: Header=BB13_7 Depth=2
	v_add_co_u32 v40, s3, v47, v56
	v_add_co_ci_u32_e64 v41, null, v59, v57, s3
	global_load_dwordx2 v[40:41], v[40:41], off
	s_branch .LBB13_6
.LBB13_61:                              ;   in Loop: Header=BB13_4 Depth=1
	v_mov_b32_e32 v60, 0
	v_mov_b32_e32 v61, 0
	s_branch .LBB13_3
.LBB13_62:
	s_endpgm
	.section	.rodata,"a",@progbits
	.p2align	6, 0x0
	.amdhsa_kernel _ZN2at6native12_GLOBAL__N_143conv_depthwise3d_cuda_backward_input_kernelIddLi3ELi3ELi3ELi1ELi1ELi1ELin1ELin1ELin1EEEvN5torch10headeronly6detail27GenericPackedTensorAccessorINS5_14TensorAccessorIN3c108ArrayRefIlEEKT_Lm4ENS4_16DefaultPtrTraitsEiEENS_6detail16IndexBoundsCheckILm5EiEESC_Lm5ESD_iEENS6_INS7_ISA_SB_Lm4ESD_iEESH_SB_Lm5ESD_iEESI_iiiiiiiii
		.amdhsa_group_segment_fixed_size 0
		.amdhsa_private_segment_fixed_size 244
		.amdhsa_kernarg_size 440
		.amdhsa_user_sgpr_count 6
		.amdhsa_user_sgpr_private_segment_buffer 1
		.amdhsa_user_sgpr_dispatch_ptr 0
		.amdhsa_user_sgpr_queue_ptr 0
		.amdhsa_user_sgpr_kernarg_segment_ptr 1
		.amdhsa_user_sgpr_dispatch_id 0
		.amdhsa_user_sgpr_flat_scratch_init 0
		.amdhsa_user_sgpr_private_segment_size 0
		.amdhsa_wavefront_size32 1
		.amdhsa_uses_dynamic_stack 0
		.amdhsa_system_sgpr_private_segment_wavefront_offset 1
		.amdhsa_system_sgpr_workgroup_id_x 1
		.amdhsa_system_sgpr_workgroup_id_y 0
		.amdhsa_system_sgpr_workgroup_id_z 0
		.amdhsa_system_sgpr_workgroup_info 0
		.amdhsa_system_vgpr_workitem_id 0
		.amdhsa_next_free_vgpr 128
		.amdhsa_next_free_sgpr 105
		.amdhsa_reserve_vcc 1
		.amdhsa_reserve_flat_scratch 0
		.amdhsa_float_round_mode_32 0
		.amdhsa_float_round_mode_16_64 0
		.amdhsa_float_denorm_mode_32 3
		.amdhsa_float_denorm_mode_16_64 3
		.amdhsa_dx10_clamp 1
		.amdhsa_ieee_mode 1
		.amdhsa_fp16_overflow 0
		.amdhsa_workgroup_processor_mode 1
		.amdhsa_memory_ordered 1
		.amdhsa_forward_progress 1
		.amdhsa_shared_vgpr_count 0
		.amdhsa_exception_fp_ieee_invalid_op 0
		.amdhsa_exception_fp_denorm_src 0
		.amdhsa_exception_fp_ieee_div_zero 0
		.amdhsa_exception_fp_ieee_overflow 0
		.amdhsa_exception_fp_ieee_underflow 0
		.amdhsa_exception_fp_ieee_inexact 0
		.amdhsa_exception_int_div_zero 0
	.end_amdhsa_kernel
	.section	.text._ZN2at6native12_GLOBAL__N_143conv_depthwise3d_cuda_backward_input_kernelIddLi3ELi3ELi3ELi1ELi1ELi1ELin1ELin1ELin1EEEvN5torch10headeronly6detail27GenericPackedTensorAccessorINS5_14TensorAccessorIN3c108ArrayRefIlEEKT_Lm4ENS4_16DefaultPtrTraitsEiEENS_6detail16IndexBoundsCheckILm5EiEESC_Lm5ESD_iEENS6_INS7_ISA_SB_Lm4ESD_iEESH_SB_Lm5ESD_iEESI_iiiiiiiii,"axG",@progbits,_ZN2at6native12_GLOBAL__N_143conv_depthwise3d_cuda_backward_input_kernelIddLi3ELi3ELi3ELi1ELi1ELi1ELin1ELin1ELin1EEEvN5torch10headeronly6detail27GenericPackedTensorAccessorINS5_14TensorAccessorIN3c108ArrayRefIlEEKT_Lm4ENS4_16DefaultPtrTraitsEiEENS_6detail16IndexBoundsCheckILm5EiEESC_Lm5ESD_iEENS6_INS7_ISA_SB_Lm4ESD_iEESH_SB_Lm5ESD_iEESI_iiiiiiiii,comdat
.Lfunc_end13:
	.size	_ZN2at6native12_GLOBAL__N_143conv_depthwise3d_cuda_backward_input_kernelIddLi3ELi3ELi3ELi1ELi1ELi1ELin1ELin1ELin1EEEvN5torch10headeronly6detail27GenericPackedTensorAccessorINS5_14TensorAccessorIN3c108ArrayRefIlEEKT_Lm4ENS4_16DefaultPtrTraitsEiEENS_6detail16IndexBoundsCheckILm5EiEESC_Lm5ESD_iEENS6_INS7_ISA_SB_Lm4ESD_iEESH_SB_Lm5ESD_iEESI_iiiiiiiii, .Lfunc_end13-_ZN2at6native12_GLOBAL__N_143conv_depthwise3d_cuda_backward_input_kernelIddLi3ELi3ELi3ELi1ELi1ELi1ELin1ELin1ELin1EEEvN5torch10headeronly6detail27GenericPackedTensorAccessorINS5_14TensorAccessorIN3c108ArrayRefIlEEKT_Lm4ENS4_16DefaultPtrTraitsEiEENS_6detail16IndexBoundsCheckILm5EiEESC_Lm5ESD_iEENS6_INS7_ISA_SB_Lm4ESD_iEESH_SB_Lm5ESD_iEESI_iiiiiiiii
                                        ; -- End function
	.set _ZN2at6native12_GLOBAL__N_143conv_depthwise3d_cuda_backward_input_kernelIddLi3ELi3ELi3ELi1ELi1ELi1ELin1ELin1ELin1EEEvN5torch10headeronly6detail27GenericPackedTensorAccessorINS5_14TensorAccessorIN3c108ArrayRefIlEEKT_Lm4ENS4_16DefaultPtrTraitsEiEENS_6detail16IndexBoundsCheckILm5EiEESC_Lm5ESD_iEENS6_INS7_ISA_SB_Lm4ESD_iEESH_SB_Lm5ESD_iEESI_iiiiiiiii.num_vgpr, 128
	.set _ZN2at6native12_GLOBAL__N_143conv_depthwise3d_cuda_backward_input_kernelIddLi3ELi3ELi3ELi1ELi1ELi1ELin1ELin1ELin1EEEvN5torch10headeronly6detail27GenericPackedTensorAccessorINS5_14TensorAccessorIN3c108ArrayRefIlEEKT_Lm4ENS4_16DefaultPtrTraitsEiEENS_6detail16IndexBoundsCheckILm5EiEESC_Lm5ESD_iEENS6_INS7_ISA_SB_Lm4ESD_iEESH_SB_Lm5ESD_iEESI_iiiiiiiii.num_agpr, 0
	.set _ZN2at6native12_GLOBAL__N_143conv_depthwise3d_cuda_backward_input_kernelIddLi3ELi3ELi3ELi1ELi1ELi1ELin1ELin1ELin1EEEvN5torch10headeronly6detail27GenericPackedTensorAccessorINS5_14TensorAccessorIN3c108ArrayRefIlEEKT_Lm4ENS4_16DefaultPtrTraitsEiEENS_6detail16IndexBoundsCheckILm5EiEESC_Lm5ESD_iEENS6_INS7_ISA_SB_Lm4ESD_iEESH_SB_Lm5ESD_iEESI_iiiiiiiii.numbered_sgpr, 105
	.set _ZN2at6native12_GLOBAL__N_143conv_depthwise3d_cuda_backward_input_kernelIddLi3ELi3ELi3ELi1ELi1ELi1ELin1ELin1ELin1EEEvN5torch10headeronly6detail27GenericPackedTensorAccessorINS5_14TensorAccessorIN3c108ArrayRefIlEEKT_Lm4ENS4_16DefaultPtrTraitsEiEENS_6detail16IndexBoundsCheckILm5EiEESC_Lm5ESD_iEENS6_INS7_ISA_SB_Lm4ESD_iEESH_SB_Lm5ESD_iEESI_iiiiiiiii.num_named_barrier, 0
	.set _ZN2at6native12_GLOBAL__N_143conv_depthwise3d_cuda_backward_input_kernelIddLi3ELi3ELi3ELi1ELi1ELi1ELin1ELin1ELin1EEEvN5torch10headeronly6detail27GenericPackedTensorAccessorINS5_14TensorAccessorIN3c108ArrayRefIlEEKT_Lm4ENS4_16DefaultPtrTraitsEiEENS_6detail16IndexBoundsCheckILm5EiEESC_Lm5ESD_iEENS6_INS7_ISA_SB_Lm4ESD_iEESH_SB_Lm5ESD_iEESI_iiiiiiiii.private_seg_size, 244
	.set _ZN2at6native12_GLOBAL__N_143conv_depthwise3d_cuda_backward_input_kernelIddLi3ELi3ELi3ELi1ELi1ELi1ELin1ELin1ELin1EEEvN5torch10headeronly6detail27GenericPackedTensorAccessorINS5_14TensorAccessorIN3c108ArrayRefIlEEKT_Lm4ENS4_16DefaultPtrTraitsEiEENS_6detail16IndexBoundsCheckILm5EiEESC_Lm5ESD_iEENS6_INS7_ISA_SB_Lm4ESD_iEESH_SB_Lm5ESD_iEESI_iiiiiiiii.uses_vcc, 1
	.set _ZN2at6native12_GLOBAL__N_143conv_depthwise3d_cuda_backward_input_kernelIddLi3ELi3ELi3ELi1ELi1ELi1ELin1ELin1ELin1EEEvN5torch10headeronly6detail27GenericPackedTensorAccessorINS5_14TensorAccessorIN3c108ArrayRefIlEEKT_Lm4ENS4_16DefaultPtrTraitsEiEENS_6detail16IndexBoundsCheckILm5EiEESC_Lm5ESD_iEENS6_INS7_ISA_SB_Lm4ESD_iEESH_SB_Lm5ESD_iEESI_iiiiiiiii.uses_flat_scratch, 0
	.set _ZN2at6native12_GLOBAL__N_143conv_depthwise3d_cuda_backward_input_kernelIddLi3ELi3ELi3ELi1ELi1ELi1ELin1ELin1ELin1EEEvN5torch10headeronly6detail27GenericPackedTensorAccessorINS5_14TensorAccessorIN3c108ArrayRefIlEEKT_Lm4ENS4_16DefaultPtrTraitsEiEENS_6detail16IndexBoundsCheckILm5EiEESC_Lm5ESD_iEENS6_INS7_ISA_SB_Lm4ESD_iEESH_SB_Lm5ESD_iEESI_iiiiiiiii.has_dyn_sized_stack, 0
	.set _ZN2at6native12_GLOBAL__N_143conv_depthwise3d_cuda_backward_input_kernelIddLi3ELi3ELi3ELi1ELi1ELi1ELin1ELin1ELin1EEEvN5torch10headeronly6detail27GenericPackedTensorAccessorINS5_14TensorAccessorIN3c108ArrayRefIlEEKT_Lm4ENS4_16DefaultPtrTraitsEiEENS_6detail16IndexBoundsCheckILm5EiEESC_Lm5ESD_iEENS6_INS7_ISA_SB_Lm4ESD_iEESH_SB_Lm5ESD_iEESI_iiiiiiiii.has_recursion, 0
	.set _ZN2at6native12_GLOBAL__N_143conv_depthwise3d_cuda_backward_input_kernelIddLi3ELi3ELi3ELi1ELi1ELi1ELin1ELin1ELin1EEEvN5torch10headeronly6detail27GenericPackedTensorAccessorINS5_14TensorAccessorIN3c108ArrayRefIlEEKT_Lm4ENS4_16DefaultPtrTraitsEiEENS_6detail16IndexBoundsCheckILm5EiEESC_Lm5ESD_iEENS6_INS7_ISA_SB_Lm4ESD_iEESH_SB_Lm5ESD_iEESI_iiiiiiiii.has_indirect_call, 0
	.section	.AMDGPU.csdata,"",@progbits
; Kernel info:
; codeLenInByte = 7444
; TotalNumSgprs: 107
; NumVgprs: 128
; ScratchSize: 244
; MemoryBound: 0
; FloatMode: 240
; IeeeMode: 1
; LDSByteSize: 0 bytes/workgroup (compile time only)
; SGPRBlocks: 0
; VGPRBlocks: 15
; NumSGPRsForWavesPerEU: 107
; NumVGPRsForWavesPerEU: 128
; Occupancy: 8
; WaveLimiterHint : 0
; COMPUTE_PGM_RSRC2:SCRATCH_EN: 1
; COMPUTE_PGM_RSRC2:USER_SGPR: 6
; COMPUTE_PGM_RSRC2:TRAP_HANDLER: 0
; COMPUTE_PGM_RSRC2:TGID_X_EN: 1
; COMPUTE_PGM_RSRC2:TGID_Y_EN: 0
; COMPUTE_PGM_RSRC2:TGID_Z_EN: 0
; COMPUTE_PGM_RSRC2:TIDIG_COMP_CNT: 0
	.section	.text._ZN2at6native12_GLOBAL__N_143conv_depthwise3d_cuda_backward_input_kernelIddLi3ELi3ELi3ELin1ELin1ELin1ELi1ELi1ELi1EEEvN5torch10headeronly6detail27GenericPackedTensorAccessorINS5_14TensorAccessorIN3c108ArrayRefIlEEKT_Lm4ENS4_16DefaultPtrTraitsEiEENS_6detail16IndexBoundsCheckILm5EiEESC_Lm5ESD_iEENS6_INS7_ISA_SB_Lm4ESD_iEESH_SB_Lm5ESD_iEESI_iiiiiiiii,"axG",@progbits,_ZN2at6native12_GLOBAL__N_143conv_depthwise3d_cuda_backward_input_kernelIddLi3ELi3ELi3ELin1ELin1ELin1ELi1ELi1ELi1EEEvN5torch10headeronly6detail27GenericPackedTensorAccessorINS5_14TensorAccessorIN3c108ArrayRefIlEEKT_Lm4ENS4_16DefaultPtrTraitsEiEENS_6detail16IndexBoundsCheckILm5EiEESC_Lm5ESD_iEENS6_INS7_ISA_SB_Lm4ESD_iEESH_SB_Lm5ESD_iEESI_iiiiiiiii,comdat
	.globl	_ZN2at6native12_GLOBAL__N_143conv_depthwise3d_cuda_backward_input_kernelIddLi3ELi3ELi3ELin1ELin1ELin1ELi1ELi1ELi1EEEvN5torch10headeronly6detail27GenericPackedTensorAccessorINS5_14TensorAccessorIN3c108ArrayRefIlEEKT_Lm4ENS4_16DefaultPtrTraitsEiEENS_6detail16IndexBoundsCheckILm5EiEESC_Lm5ESD_iEENS6_INS7_ISA_SB_Lm4ESD_iEESH_SB_Lm5ESD_iEESI_iiiiiiiii ; -- Begin function _ZN2at6native12_GLOBAL__N_143conv_depthwise3d_cuda_backward_input_kernelIddLi3ELi3ELi3ELin1ELin1ELin1ELi1ELi1ELi1EEEvN5torch10headeronly6detail27GenericPackedTensorAccessorINS5_14TensorAccessorIN3c108ArrayRefIlEEKT_Lm4ENS4_16DefaultPtrTraitsEiEENS_6detail16IndexBoundsCheckILm5EiEESC_Lm5ESD_iEENS6_INS7_ISA_SB_Lm4ESD_iEESH_SB_Lm5ESD_iEESI_iiiiiiiii
	.p2align	8
	.type	_ZN2at6native12_GLOBAL__N_143conv_depthwise3d_cuda_backward_input_kernelIddLi3ELi3ELi3ELin1ELin1ELin1ELi1ELi1ELi1EEEvN5torch10headeronly6detail27GenericPackedTensorAccessorINS5_14TensorAccessorIN3c108ArrayRefIlEEKT_Lm4ENS4_16DefaultPtrTraitsEiEENS_6detail16IndexBoundsCheckILm5EiEESC_Lm5ESD_iEENS6_INS7_ISA_SB_Lm4ESD_iEESH_SB_Lm5ESD_iEESI_iiiiiiiii,@function
_ZN2at6native12_GLOBAL__N_143conv_depthwise3d_cuda_backward_input_kernelIddLi3ELi3ELi3ELin1ELin1ELin1ELi1ELi1ELi1EEEvN5torch10headeronly6detail27GenericPackedTensorAccessorINS5_14TensorAccessorIN3c108ArrayRefIlEEKT_Lm4ENS4_16DefaultPtrTraitsEiEENS_6detail16IndexBoundsCheckILm5EiEESC_Lm5ESD_iEENS6_INS7_ISA_SB_Lm4ESD_iEESH_SB_Lm5ESD_iEESI_iiiiiiiii: ; @_ZN2at6native12_GLOBAL__N_143conv_depthwise3d_cuda_backward_input_kernelIddLi3ELi3ELi3ELin1ELin1ELin1ELi1ELi1ELi1EEEvN5torch10headeronly6detail27GenericPackedTensorAccessorINS5_14TensorAccessorIN3c108ArrayRefIlEEKT_Lm4ENS4_16DefaultPtrTraitsEiEENS_6detail16IndexBoundsCheckILm5EiEESC_Lm5ESD_iEENS6_INS7_ISA_SB_Lm4ESD_iEESH_SB_Lm5ESD_iEESI_iiiiiiiii
; %bb.0:
	s_mov_b64 s[82:83], s[2:3]
	s_mov_b64 s[80:81], s[0:1]
	s_clause 0x2
	s_load_dwordx4 s[8:11], s[4:5], 0x38
	s_load_dword s2, s[4:5], 0xc4
	s_load_dwordx2 s[24:25], s[4:5], 0x48
	s_add_u32 s80, s80, s7
	s_addc_u32 s81, s81, 0
	s_waitcnt lgkmcnt(0)
	s_abs_i32 s33, s9
	s_add_u32 s0, s4, 0xb8
	v_cvt_f32_u32_e32 v1, s33
	s_addc_u32 s1, s5, 0
	s_and_b32 s2, s2, 0xffff
	v_rcp_iflag_f32_e32 v2, v1
	v_mov_b32_e32 v1, 0
	v_mad_u64_u32 v[14:15], null, s2, s6, v[0:1]
	s_mul_i32 s6, s25, s8
	s_mov_b32 s8, exec_lo
	v_mul_f32_e32 v2, 0x4f7ffffe, v2
	s_ashr_i32 s7, s6, 31
	v_cvt_u32_f32_e32 v0, v2
	v_readfirstlane_b32 s3, v0
	v_cmpx_gt_i64_e64 s[6:7], v[14:15]
	s_cbranch_execz .LBB14_62
; %bb.1:
	s_clause 0x1
	s_load_dwordx4 s[12:15], s[4:5], 0xc
	s_load_dwordx2 s[26:27], s[4:5], 0x0
	s_sub_i32 s16, 0, s33
	s_load_dwordx2 s[28:29], s[4:5], 0xac
	s_load_dword s0, s[0:1], 0x0
	s_mul_i32 s8, s16, s3
	v_mul_lo_u32 v4, s16, v0
	s_mul_hi_u32 s8, s3, s8
	s_add_i32 s3, s3, s8
	s_ashr_i32 s8, s9, 31
	v_mul_hi_u32 v4, v0, v4
	s_waitcnt lgkmcnt(0)
	s_abs_i32 s17, s12
	s_ashr_i32 s12, s12, 31
	s_mul_hi_u32 s3, s17, s3
	s_xor_b32 s12, s12, s8
	s_mul_i32 s18, s3, s33
	v_add_nc_u32_e32 v0, v0, v4
	s_sub_i32 s17, s17, s18
	s_add_i32 s18, s3, 1
	s_sub_i32 s19, s17, s33
	s_cmp_ge_u32 s17, s33
	s_mul_i32 s43, s0, s2
	s_cselect_b32 s3, s18, s3
	s_cselect_b32 s17, s19, s17
	s_add_i32 s18, s3, 1
	s_cmp_ge_u32 s17, s33
	s_cselect_b32 s3, s18, s3
	s_clause 0x3
	s_load_dwordx4 s[16:19], s[4:5], 0x9c
	s_load_dword s42, s[4:5], 0x7c
	s_load_dwordx2 s[30:31], s[4:5], 0x1c
	s_load_dwordx2 s[34:35], s[4:5], 0x30
	s_xor_b32 s3, s3, s12
	s_sub_i32 s12, s3, s12
	s_cmp_gt_i32 s12, 0
	s_cselect_b32 s38, -1, 0
	s_abs_i32 s39, s24
	s_abs_i32 s40, s11
	v_cvt_f32_u32_e32 v1, s39
	v_cvt_f32_u32_e32 v2, s40
	s_abs_i32 s41, s10
	s_sub_i32 s1, 0, s39
	v_cvt_f32_u32_e32 v3, s41
	v_rcp_iflag_f32_e32 v1, v1
	v_rcp_iflag_f32_e32 v2, v2
	s_sub_i32 s3, 0, s40
	s_sub_i32 s20, 0, s41
	v_rcp_iflag_f32_e32 v3, v3
	s_lshl_b32 s44, s29, 1
	s_lshl_b32 s45, s28, 1
	s_waitcnt lgkmcnt(0)
	s_lshl_b32 s46, s19, 1
	s_ashr_i32 s47, s24, 31
	s_ashr_i32 s48, s11, 31
	v_mul_f32_e32 v1, 0x4f7ffffe, v1
	v_mul_f32_e32 v2, 0x4f7ffffe, v2
	s_ashr_i32 s49, s10, 31
	s_mul_i32 s50, s31, s12
	v_mul_f32_e32 v3, 0x4f7ffffe, v3
	v_cvt_u32_f32_e32 v1, v1
	v_cvt_u32_f32_e32 v2, v2
	;; [unrolled: 1-line block ×3, first 2 shown]
	v_mul_lo_u32 v5, s1, v1
	v_mul_lo_u32 v6, s3, v2
	;; [unrolled: 1-line block ×3, first 2 shown]
	s_clause 0x1
	s_load_dwordx2 s[36:37], s[4:5], 0x60
	s_load_dwordx4 s[20:23], s[4:5], 0x50
	buffer_store_dword v0, off, s[80:83], 0 offset:208 ; 4-byte Folded Spill
	s_mov_b32 s5, 0
	v_mul_hi_u32 v0, v1, v5
	v_mul_hi_u32 v4, v2, v6
	;; [unrolled: 1-line block ×3, first 2 shown]
	v_add_nc_u32_e32 v0, v1, v0
	buffer_store_dword v0, off, s[80:83], 0 offset:212 ; 4-byte Folded Spill
	v_add_nc_u32_e32 v0, v2, v4
	buffer_store_dword v0, off, s[80:83], 0 offset:216 ; 4-byte Folded Spill
	;; [unrolled: 2-line block ×3, first 2 shown]
	s_branch .LBB14_4
.LBB14_2:                               ;   in Loop: Header=BB14_4 Depth=1
	s_or_b32 exec_lo, exec_lo, s0
	s_clause 0x5
	buffer_load_dword v14, off, s[80:83], 0 offset:184
	buffer_load_dword v15, off, s[80:83], 0 offset:188
	buffer_load_dword v3, off, s[80:83], 0 offset:192
	buffer_load_dword v7, off, s[80:83], 0 offset:196
	buffer_load_dword v1, off, s[80:83], 0 offset:200
	buffer_load_dword v8, off, s[80:83], 0 offset:204
.LBB14_3:                               ;   in Loop: Header=BB14_4 Depth=1
	s_waitcnt vmcnt(0)
	v_mul_lo_u32 v0, v8, s25
	s_waitcnt lgkmcnt(0)
	v_mul_lo_u32 v2, s20, v49
	v_mul_lo_u32 v6, s21, v1
	;; [unrolled: 1-line block ×4, first 2 shown]
	v_add_co_u32 v14, vcc_lo, v14, s43
	v_add_co_ci_u32_e64 v15, null, 0, v15, vcc_lo
	v_ashrrev_i32_e32 v1, 31, v0
	v_ashrrev_i32_e32 v3, 31, v2
	v_ashrrev_i32_e32 v7, 31, v6
	v_ashrrev_i32_e32 v9, 31, v8
	v_ashrrev_i32_e32 v11, 31, v10
	v_lshlrev_b64 v[0:1], 3, v[0:1]
	v_lshlrev_b64 v[2:3], 3, v[2:3]
	v_add_co_u32 v12, vcc_lo, s34, v0
	v_add_co_ci_u32_e64 v13, null, s35, v1, vcc_lo
	v_lshlrev_b64 v[0:1], 3, v[6:7]
	v_add_co_u32 v6, vcc_lo, v12, v2
	v_add_co_ci_u32_e64 v7, null, v13, v3, vcc_lo
	;; [unrolled: 3-line block ×4, first 2 shown]
	v_cmp_le_i64_e32 vcc_lo, s[6:7], v[14:15]
	v_add_co_u32 v0, s0, v2, v0
	v_add_co_ci_u32_e64 v1, null, v3, v1, s0
	s_or_b32 s5, vcc_lo, s5
	global_store_dwordx2 v[0:1], v[4:5], off
	s_andn2_b32 exec_lo, exec_lo, s5
	s_cbranch_execz .LBB14_62
.LBB14_4:                               ; =>This Loop Header: Depth=1
                                        ;     Child Loop BB14_7 Depth 2
	buffer_load_dword v1, off, s[80:83], 0 offset:212 ; 4-byte Folded Reload
	v_sub_nc_u32_e32 v0, 0, v14
	v_max_i32_e32 v0, v14, v0
	s_waitcnt vmcnt(0)
	v_mul_hi_u32 v1, v0, v1
	v_mul_lo_u32 v2, v1, s39
	v_sub_nc_u32_e32 v0, v0, v2
	v_add_nc_u32_e32 v2, 1, v1
	v_subrev_nc_u32_e32 v3, s39, v0
	v_cmp_le_u32_e32 vcc_lo, s39, v0
	v_cndmask_b32_e32 v1, v1, v2, vcc_lo
	v_cndmask_b32_e32 v0, v0, v3, vcc_lo
	v_ashrrev_i32_e32 v2, 31, v14
	v_add_nc_u32_e32 v3, 1, v1
	v_cmp_le_u32_e32 vcc_lo, s39, v0
	v_xor_b32_e32 v2, s47, v2
	v_cndmask_b32_e32 v0, v1, v3, vcc_lo
	v_xor_b32_e32 v0, v0, v2
	v_sub_nc_u32_e32 v0, v0, v2
	buffer_load_dword v2, off, s[80:83], 0 offset:216 ; 4-byte Folded Reload
	v_sub_nc_u32_e32 v1, 0, v0
	v_max_i32_e32 v1, v0, v1
	s_waitcnt vmcnt(0)
	v_mul_hi_u32 v2, v1, v2
	v_mul_lo_u32 v3, v2, s40
	v_sub_nc_u32_e32 v1, v1, v3
	v_add_nc_u32_e32 v3, 1, v2
	v_subrev_nc_u32_e32 v4, s40, v1
	v_cmp_le_u32_e32 vcc_lo, s40, v1
	v_cndmask_b32_e32 v2, v2, v3, vcc_lo
	v_cndmask_b32_e32 v1, v1, v4, vcc_lo
	v_ashrrev_i32_e32 v3, 31, v0
	v_add_nc_u32_e32 v4, 1, v2
	v_cmp_le_u32_e32 vcc_lo, s40, v1
	v_xor_b32_e32 v3, s48, v3
	v_cndmask_b32_e32 v1, v2, v4, vcc_lo
	v_xor_b32_e32 v1, v1, v3
	v_sub_nc_u32_e32 v1, v1, v3
	;; [unrolled: 19-line block ×3, first 2 shown]
	buffer_load_dword v4, off, s[80:83], 0 offset:208 ; 4-byte Folded Reload
	v_sub_nc_u32_e32 v3, 0, v2
	v_max_i32_e32 v3, v2, v3
	s_waitcnt vmcnt(0)
	v_mul_hi_u32 v4, v3, v4
	v_mul_lo_u32 v5, v4, s33
	v_sub_nc_u32_e32 v3, v3, v5
	v_add_nc_u32_e32 v5, 1, v4
	v_subrev_nc_u32_e32 v6, s33, v3
	v_cmp_le_u32_e32 vcc_lo, s33, v3
	v_cndmask_b32_e32 v4, v4, v5, vcc_lo
	v_cndmask_b32_e32 v3, v3, v6, vcc_lo
	v_ashrrev_i32_e32 v5, 31, v2
	v_add_nc_u32_e32 v6, 1, v4
	v_cmp_le_u32_e32 vcc_lo, s33, v3
	v_xor_b32_e32 v5, s8, v5
	v_cndmask_b32_e32 v3, v4, v6, vcc_lo
	v_mul_lo_u32 v4, v1, s11
	s_andn2_b32 vcc_lo, exec_lo, s38
	v_xor_b32_e32 v3, v3, v5
	v_sub_nc_u32_e32 v7, v0, v4
	v_sub_nc_u32_e32 v8, v3, v5
	v_mul_lo_u32 v3, v0, s24
	v_mul_lo_u32 v5, v2, s10
	;; [unrolled: 1-line block ×3, first 2 shown]
	v_sub_nc_u32_e32 v3, v14, v3
	v_sub_nc_u32_e32 v1, v1, v5
	;; [unrolled: 1-line block ×3, first 2 shown]
	s_cbranch_vccnz .LBB14_61
; %bb.5:                                ;   in Loop: Header=BB14_4 Depth=1
	buffer_store_dword v14, off, s[80:83], 0 offset:184 ; 4-byte Folded Spill
	buffer_store_dword v15, off, s[80:83], 0 offset:188 ; 4-byte Folded Spill
	buffer_store_dword v1, off, s[80:83], 0 offset:200 ; 4-byte Folded Spill
	v_add_nc_u32_e32 v25, s16, v1
	v_mul_lo_u32 v1, s30, v8
	v_mul_lo_u32 v46, v49, s12
	buffer_store_dword v3, off, s[80:83], 0 offset:192 ; 4-byte Folded Spill
	v_add_nc_u32_e32 v0, s18, v3
	v_add_nc_u32_e32 v21, s17, v7
	v_mul_lo_u32 v16, v25, s14
	buffer_store_dword v7, off, s[80:83], 0 offset:196 ; 4-byte Folded Spill
	v_cmp_gt_i32_e32 vcc_lo, s13, v25
	v_ashrrev_i32_e32 v2, 31, v1
	v_mul_lo_u32 v3, s42, v46
	v_or_b32_e32 v5, v0, v21
	v_cmp_gt_i32_e64 s0, s14, v21
	v_subrev_nc_u32_e32 v20, s28, v21
	v_lshlrev_b64 v[1:2], 3, v[1:2]
	v_add_nc_u32_e32 v7, v21, v16
	v_subrev_nc_u32_e32 v22, s46, v25
	v_subrev_nc_u32_e32 v28, s19, v25
	v_ashrrev_i32_e32 v4, 31, v3
	v_or_b32_e32 v13, v0, v20
	v_add_co_u32 v1, s1, s26, v1
	v_mul_lo_u32 v10, v7, s15
	v_lshlrev_b64 v[3:4], 3, v[3:4]
	v_or_b32_e32 v23, v5, v22
	buffer_store_dword v1, off, s[80:83], 0 ; 4-byte Folded Spill
	v_add_co_ci_u32_e64 v1, null, s27, v2, s1
	v_or_b32_e32 v27, v5, v28
	s_waitcnt lgkmcnt(0)
	v_add_co_u32 v2, s1, s36, v3
	buffer_store_dword v1, off, s[80:83], 0 offset:4 ; 4-byte Folded Spill
	v_subrev_nc_u32_e32 v1, s29, v0
	v_add_co_ci_u32_e64 v3, null, s37, v4, s1
	v_or_b32_e32 v4, v5, v25
	v_cmp_gt_i32_e64 s1, s15, v0
	v_or_b32_e32 v9, v1, v21
	buffer_store_dword v8, off, s[80:83], 0 offset:204 ; 4-byte Folded Spill
	v_add_nc_u32_e32 v8, v1, v10
	v_cmp_lt_i32_e64 s2, -1, v4
	s_and_b32 s69, s1, s0
	v_or_b32_e32 v7, v9, v25
	v_add_nc_u32_e32 v4, v0, v10
	v_add_nc_u32_e32 v14, v20, v16
	s_and_b32 s2, s69, s2
	v_or_b32_e32 v15, v1, v20
	v_cmp_lt_i32_e64 s3, -1, v7
	v_subrev_nc_u32_e32 v7, s44, v0
	s_and_b32 s51, s2, vcc_lo
	v_cmp_gt_i32_e64 s2, s15, v1
	v_ashrrev_i32_e32 v5, 31, v4
	v_or_b32_e32 v24, v9, v22
	v_or_b32_e32 v11, v7, v21
	;; [unrolled: 1-line block ×3, first 2 shown]
	s_and_b32 s70, s2, s0
	v_lshlrev_b64 v[4:5], 3, v[4:5]
	s_and_b32 s3, s70, s3
	v_or_b32_e32 v12, v11, v25
	s_and_b32 s52, s3, vcc_lo
	v_cmp_gt_i32_e64 s3, s15, v7
	v_ashrrev_i32_e32 v9, 31, v8
	v_mul_lo_u32 v18, v14, s15
	v_cmp_lt_i32_e64 s4, -1, v12
	v_or_b32_e32 v12, v13, v25
	s_and_b32 s71, s3, s0
	v_cmp_gt_i32_e64 s0, s14, v20
	v_add_nc_u32_e32 v10, v7, v10
	s_and_b32 s4, s71, s4
	buffer_store_dword v4, off, s[80:83], 0 offset:8 ; 4-byte Folded Spill
	buffer_store_dword v5, off, s[80:83], 0 offset:12 ; 4-byte Folded Spill
	s_and_b32 s53, s4, vcc_lo
	v_cmp_lt_i32_e64 s4, -1, v12
	v_or_b32_e32 v14, v15, v25
	v_lshlrev_b64 v[4:5], 3, v[8:9]
	s_and_b32 s72, s1, s0
	v_or_b32_e32 v17, v7, v20
	v_or_b32_e32 v43, v11, v22
	;; [unrolled: 1-line block ×3, first 2 shown]
	v_ashrrev_i32_e32 v11, 31, v10
	s_and_b32 s4, s72, s4
	v_add_nc_u32_e32 v12, v0, v18
	s_and_b32 s54, s4, vcc_lo
	v_cmp_lt_i32_e64 s4, -1, v14
	buffer_store_dword v4, off, s[80:83], 0 offset:16 ; 4-byte Folded Spill
	buffer_store_dword v5, off, s[80:83], 0 offset:20 ; 4-byte Folded Spill
	v_subrev_nc_u32_e32 v6, s45, v21
	v_or_b32_e32 v33, v17, v25
	v_lshlrev_b64 v[4:5], 3, v[10:11]
	s_and_b32 s73, s2, s0
	v_or_b32_e32 v44, v13, v22
	v_or_b32_e32 v32, v13, v28
	v_ashrrev_i32_e32 v13, 31, v12
	s_and_b32 s4, s73, s4
	v_add_nc_u32_e32 v14, v1, v18
	s_and_b32 s55, s4, vcc_lo
	v_cmp_lt_i32_e64 s4, -1, v33
	v_add_nc_u32_e32 v33, v6, v16
	v_or_b32_e32 v19, v0, v6
	buffer_store_dword v4, off, s[80:83], 0 offset:24 ; 4-byte Folded Spill
	buffer_store_dword v5, off, s[80:83], 0 offset:28 ; 4-byte Folded Spill
	v_lshlrev_b64 v[4:5], 3, v[12:13]
	v_or_b32_e32 v45, v15, v22
	v_or_b32_e32 v36, v15, v28
	v_ashrrev_i32_e32 v15, 31, v14
	v_mul_lo_u32 v33, v33, s15
	v_add_nc_u32_e32 v16, v7, v18
	v_or_b32_e32 v18, v19, v25
	s_and_b32 s74, s3, s0
	v_or_b32_e32 v26, v1, v6
	buffer_store_dword v4, off, s[80:83], 0 offset:32 ; 4-byte Folded Spill
	buffer_store_dword v5, off, s[80:83], 0 offset:36 ; 4-byte Folded Spill
	s_and_b32 s4, s74, s4
	v_cmp_gt_i32_e64 s0, s14, v6
	v_lshlrev_b64 v[4:5], 3, v[14:15]
	v_or_b32_e32 v47, v17, v22
	v_or_b32_e32 v37, v17, v28
	s_and_b32 s56, s4, vcc_lo
	v_ashrrev_i32_e32 v17, 31, v16
	v_cmp_lt_i32_e64 s4, -1, v18
	v_or_b32_e32 v34, v26, v25
	v_add_nc_u32_e32 v18, v0, v33
	v_mul_lo_u32 v38, v28, s14
	s_and_b32 s75, s1, s0
	v_or_b32_e32 v29, v7, v6
	buffer_store_dword v4, off, s[80:83], 0 offset:40 ; 4-byte Folded Spill
	buffer_store_dword v5, off, s[80:83], 0 offset:44 ; 4-byte Folded Spill
	s_and_b32 s1, s75, s4
	v_lshlrev_b64 v[4:5], 3, v[16:17]
	v_or_b32_e32 v50, v19, v22
	v_or_b32_e32 v40, v19, v28
	s_and_b32 s57, s1, vcc_lo
	v_cmp_lt_i32_e64 s1, -1, v34
	v_ashrrev_i32_e32 v19, 31, v18
	v_or_b32_e32 v34, v29, v25
	v_add_nc_u32_e32 v25, v1, v33
	s_and_b32 s76, s2, s0
	v_add_nc_u32_e32 v35, v21, v38
	buffer_store_dword v4, off, s[80:83], 0 offset:48 ; 4-byte Folded Spill
	buffer_store_dword v5, off, s[80:83], 0 offset:52 ; 4-byte Folded Spill
	s_and_b32 s1, s76, s1
	v_lshlrev_b64 v[4:5], 3, v[18:19]
	v_or_b32_e32 v51, v26, v22
	v_or_b32_e32 v41, v26, v28
	s_and_b32 s58, s1, vcc_lo
	v_cmp_lt_i32_e64 s1, -1, v34
	v_ashrrev_i32_e32 v26, 31, v25
	v_mul_lo_u32 v34, v35, s15
	s_and_b32 s77, s3, s0
	v_cmp_lt_i32_e64 s0, -1, v27
	v_add_nc_u32_e32 v27, v7, v33
	buffer_store_dword v4, off, s[80:83], 0 offset:56 ; 4-byte Folded Spill
	buffer_store_dword v5, off, s[80:83], 0 offset:60 ; 4-byte Folded Spill
	s_and_b32 s1, s77, s1
	v_lshlrev_b64 v[4:5], 3, v[25:26]
	v_or_b32_e32 v42, v29, v28
	s_and_b32 s59, s1, vcc_lo
	v_cmp_gt_i32_e32 vcc_lo, s13, v28
	v_ashrrev_i32_e32 v28, 31, v27
	v_or_b32_e32 v54, v29, v22
	v_add_nc_u32_e32 v29, v0, v34
	s_and_b32 s1, s69, s0
	v_cmp_lt_i32_e64 s0, -1, v30
	buffer_store_dword v4, off, s[80:83], 0 offset:64 ; 4-byte Folded Spill
	buffer_store_dword v5, off, s[80:83], 0 offset:68 ; 4-byte Folded Spill
	v_lshlrev_b64 v[4:5], 3, v[27:28]
	v_ashrrev_i32_e32 v30, 31, v29
	s_and_b32 s60, s1, vcc_lo
	s_and_b32 s1, s70, s0
	v_cmp_lt_i32_e64 s0, -1, v31
	v_add_nc_u32_e32 v31, v1, v34
	v_add_nc_u32_e32 v33, v20, v38
	buffer_store_dword v4, off, s[80:83], 0 offset:72 ; 4-byte Folded Spill
	buffer_store_dword v5, off, s[80:83], 0 offset:76 ; 4-byte Folded Spill
	v_lshlrev_b64 v[4:5], 3, v[29:30]
	s_and_b32 s61, s1, vcc_lo
	v_cmp_lt_i32_e64 s1, -1, v32
	v_ashrrev_i32_e32 v32, 31, v31
	v_mul_lo_u32 v39, v33, s15
	v_add_nc_u32_e32 v33, v7, v34
	buffer_store_dword v4, off, s[80:83], 0 offset:80 ; 4-byte Folded Spill
	buffer_store_dword v5, off, s[80:83], 0 offset:84 ; 4-byte Folded Spill
	s_and_b32 s0, s71, s0
	v_lshlrev_b64 v[4:5], 3, v[31:32]
	buffer_store_dword v4, off, s[80:83], 0 offset:88 ; 4-byte Folded Spill
	buffer_store_dword v5, off, s[80:83], 0 offset:92 ; 4-byte Folded Spill
	v_ashrrev_i32_e32 v34, 31, v33
	v_add_nc_u32_e32 v35, v0, v39
	s_and_b32 s62, s0, vcc_lo
	s_and_b32 s0, s72, s1
	v_add_nc_u32_e32 v38, v6, v38
	v_lshlrev_b64 v[4:5], 3, v[33:34]
	s_and_b32 s63, s0, vcc_lo
	v_cmp_lt_i32_e64 s0, -1, v36
	v_ashrrev_i32_e32 v36, 31, v35
	v_cmp_lt_i32_e64 s1, -1, v37
	v_add_nc_u32_e32 v37, v1, v39
	buffer_store_dword v4, off, s[80:83], 0 offset:96 ; 4-byte Folded Spill
	buffer_store_dword v5, off, s[80:83], 0 offset:100 ; 4-byte Folded Spill
	v_mul_lo_u32 v48, v38, s15
	v_lshlrev_b64 v[4:5], 3, v[35:36]
	v_add_nc_u32_e32 v39, v7, v39
	v_ashrrev_i32_e32 v38, 31, v37
	s_and_b32 s0, s73, s0
	buffer_store_dword v4, off, s[80:83], 0 offset:104 ; 4-byte Folded Spill
	buffer_store_dword v5, off, s[80:83], 0 offset:108 ; 4-byte Folded Spill
	s_and_b32 s64, s0, vcc_lo
	s_and_b32 s0, s74, s1
	v_lshlrev_b64 v[4:5], 3, v[37:38]
	s_and_b32 s65, s0, vcc_lo
	v_cmp_lt_i32_e64 s0, -1, v40
	v_ashrrev_i32_e32 v40, 31, v39
	v_mov_b32_e32 v57, v49
	v_mul_lo_u32 v49, v22, s14
	v_cmp_lt_i32_e64 s1, -1, v41
	v_add_nc_u32_e32 v41, v0, v48
	buffer_store_dword v4, off, s[80:83], 0 offset:112 ; 4-byte Folded Spill
	buffer_store_dword v5, off, s[80:83], 0 offset:116 ; 4-byte Folded Spill
	s_and_b32 s0, s75, s0
	v_lshlrev_b64 v[4:5], 3, v[39:40]
	v_cmp_lt_i32_e64 s2, -1, v42
	s_and_b32 s66, s0, vcc_lo
	s_and_b32 s0, s76, s1
	v_ashrrev_i32_e32 v42, 31, v41
	s_and_b32 s67, s0, vcc_lo
	v_cmp_gt_i32_e64 s0, s13, v22
	v_add_nc_u32_e32 v22, v21, v49
	v_add_nc_u32_e32 v21, v1, v48
	buffer_store_dword v4, off, s[80:83], 0 offset:120 ; 4-byte Folded Spill
	buffer_store_dword v5, off, s[80:83], 0 offset:124 ; 4-byte Folded Spill
	v_lshlrev_b64 v[4:5], 3, v[41:42]
	v_cmp_lt_i32_e64 s1, -1, v23
	v_mul_lo_u32 v52, v22, s15
	v_ashrrev_i32_e32 v22, 31, v21
	v_add_nc_u32_e32 v23, v7, v48
	buffer_store_dword v4, off, s[80:83], 0 offset:128 ; 4-byte Folded Spill
	buffer_store_dword v5, off, s[80:83], 0 offset:132 ; 4-byte Folded Spill
	s_and_b32 s3, s77, s2
	v_lshlrev_b64 v[4:5], 3, v[21:22]
	v_cmp_lt_i32_e64 s2, -1, v24
	v_ashrrev_i32_e32 v24, 31, v23
	s_and_b32 s68, s3, vcc_lo
	v_cmp_lt_i32_e32 vcc_lo, -1, v43
	v_add_nc_u32_e32 v43, v0, v52
	buffer_store_dword v4, off, s[80:83], 0 offset:136 ; 4-byte Folded Spill
	buffer_store_dword v5, off, s[80:83], 0 offset:140 ; 4-byte Folded Spill
	s_and_b32 s1, s69, s1
	v_lshlrev_b64 v[4:5], 3, v[23:24]
	s_and_b32 s69, s1, s0
	v_cmp_lt_i32_e64 s1, -1, v44
	v_ashrrev_i32_e32 v44, 31, v43
	v_cmp_lt_i32_e64 s3, -1, v47
	v_add_nc_u32_e32 v47, v1, v52
	v_add_nc_u32_e32 v20, v20, v49
	buffer_store_dword v4, off, s[80:83], 0 offset:144 ; 4-byte Folded Spill
	buffer_store_dword v5, off, s[80:83], 0 offset:148 ; 4-byte Folded Spill
	v_lshlrev_b64 v[4:5], 3, v[43:44]
	v_add_nc_u32_e32 v6, v6, v49
	v_ashrrev_i32_e32 v48, 31, v47
	v_mul_lo_u32 v20, v20, s15
	v_add_nc_u32_e32 v49, v7, v52
	buffer_store_dword v4, off, s[80:83], 0 offset:152 ; 4-byte Folded Spill
	buffer_store_dword v5, off, s[80:83], 0 offset:156 ; 4-byte Folded Spill
	s_and_b32 s4, s70, s2
	v_lshlrev_b64 v[4:5], 3, v[47:48]
	s_and_b32 s70, s4, s0
	s_and_b32 s4, s71, vcc_lo
	v_cmp_lt_i32_e32 vcc_lo, -1, v50
	v_ashrrev_i32_e32 v50, 31, v49
	v_cmp_lt_i32_e64 s2, -1, v45
	v_mul_lo_u32 v45, v6, s15
	s_and_b32 s71, s4, s0
	v_cmp_lt_i32_e64 s4, -1, v51
	v_add_nc_u32_e32 v51, v0, v20
	buffer_store_dword v4, off, s[80:83], 0 offset:160 ; 4-byte Folded Spill
	buffer_store_dword v5, off, s[80:83], 0 offset:164 ; 4-byte Folded Spill
	v_lshlrev_b64 v[4:5], 3, v[49:50]
	v_add_nc_u32_e32 v53, v1, v20
	v_add_nc_u32_e32 v55, v7, v20
	v_ashrrev_i32_e32 v52, 31, v51
	v_add_nc_u32_e32 v0, v0, v45
	v_add_nc_u32_e32 v6, v1, v45
	;; [unrolled: 1-line block ×3, first 2 shown]
	s_and_b32 s1, s72, s1
	buffer_store_dword v4, off, s[80:83], 0 offset:168 ; 4-byte Folded Spill
	buffer_store_dword v5, off, s[80:83], 0 offset:172 ; 4-byte Folded Spill
	s_and_b32 s72, s1, s0
	s_and_b32 s1, s73, s2
	v_mov_b32_e32 v49, v57
	v_lshlrev_b64 v[4:5], 3, v[51:52]
	s_and_b32 s2, s1, s0
	v_cmp_lt_i32_e64 s1, -1, v54
	v_ashrrev_i32_e32 v54, 31, v53
	v_ashrrev_i32_e32 v56, 31, v55
	;; [unrolled: 1-line block ×5, first 2 shown]
	v_mul_lo_u32 v58, s50, v49
	buffer_store_dword v4, off, s[80:83], 0 offset:176 ; 4-byte Folded Spill
	buffer_store_dword v5, off, s[80:83], 0 offset:180 ; 4-byte Folded Spill
	v_lshlrev_b64 v[50:51], 3, v[53:54]
	v_lshlrev_b64 v[52:53], 3, v[55:56]
	;; [unrolled: 1-line block ×5, first 2 shown]
	v_mov_b32_e32 v4, 0
	v_mov_b32_e32 v5, 0
	v_add_nc_u32_e32 v47, s12, v46
	s_and_b32 s3, s74, s3
	s_and_b32 s73, s75, vcc_lo
	s_and_b32 s4, s76, s4
	s_and_b32 s74, s77, s1
	s_and_b32 s3, s3, s0
	s_and_b32 s73, s73, s0
	s_and_b32 s1, s4, s0
	s_and_b32 s4, s74, s0
	s_mov_b32 s0, 0
	s_branch .LBB14_7
.LBB14_6:                               ;   in Loop: Header=BB14_7 Depth=2
	s_or_b32 exec_lo, exec_lo, s74
	s_waitcnt vmcnt(26)
	v_fma_f64 v[4:5], v[62:63], v[64:65], v[4:5]
	v_add_nc_u32_e32 v46, 1, v46
	v_add_co_u32 v2, vcc_lo, 0xd8, v2
	v_add_co_ci_u32_e64 v3, null, 0, v3, vcc_lo
	v_cmp_ge_i32_e32 vcc_lo, v46, v47
	v_add_nc_u32_e32 v58, s31, v58
	s_or_b32 s0, vcc_lo, s0
	s_waitcnt vmcnt(25)
	v_fma_f64 v[4:5], v[66:67], v[70:71], v[4:5]
	s_waitcnt vmcnt(24)
	v_fma_f64 v[4:5], v[72:73], v[68:69], v[4:5]
	;; [unrolled: 2-line block ×26, first 2 shown]
	s_andn2_b32 exec_lo, exec_lo, s0
	s_cbranch_execz .LBB14_2
.LBB14_7:                               ;   Parent Loop BB14_4 Depth=1
                                        ; =>  This Inner Loop Header: Depth=2
	buffer_load_dword v6, off, s[80:83], 0  ; 4-byte Folded Reload
	v_ashrrev_i32_e32 v59, 31, v58
	global_load_dwordx2 v[62:63], v[2:3], off
	v_mov_b32_e32 v64, 0
	v_mov_b32_e32 v65, 0
	v_lshlrev_b64 v[0:1], 3, v[58:59]
	s_waitcnt vmcnt(1)
	v_add_co_u32 v59, vcc_lo, v6, v0
	buffer_load_dword v0, off, s[80:83], 0 offset:4 ; 4-byte Folded Reload
	s_waitcnt vmcnt(0)
	v_add_co_ci_u32_e64 v48, null, v0, v1, vcc_lo
	s_and_saveexec_b32 s74, s51
	s_cbranch_execz .LBB14_9
; %bb.8:                                ;   in Loop: Header=BB14_7 Depth=2
	s_clause 0x1
	buffer_load_dword v0, off, s[80:83], 0 offset:8
	buffer_load_dword v1, off, s[80:83], 0 offset:12
	s_waitcnt vmcnt(1)
	v_add_co_u32 v0, vcc_lo, v59, v0
	s_waitcnt vmcnt(0)
	v_add_co_ci_u32_e64 v1, null, v48, v1, vcc_lo
	global_load_dwordx2 v[64:65], v[0:1], off
.LBB14_9:                               ;   in Loop: Header=BB14_7 Depth=2
	s_or_b32 exec_lo, exec_lo, s74
	global_load_dwordx2 v[66:67], v[2:3], off offset:8
	v_mov_b32_e32 v68, 0
	v_mov_b32_e32 v70, 0
	v_mov_b32_e32 v69, 0
	v_mov_b32_e32 v71, 0
	s_and_saveexec_b32 s74, s52
	s_cbranch_execz .LBB14_11
; %bb.10:                               ;   in Loop: Header=BB14_7 Depth=2
	s_clause 0x1
	buffer_load_dword v0, off, s[80:83], 0 offset:16
	buffer_load_dword v1, off, s[80:83], 0 offset:20
	s_waitcnt vmcnt(1)
	v_add_co_u32 v0, vcc_lo, v59, v0
	s_waitcnt vmcnt(0)
	v_add_co_ci_u32_e64 v1, null, v48, v1, vcc_lo
	global_load_dwordx2 v[70:71], v[0:1], off
.LBB14_11:                              ;   in Loop: Header=BB14_7 Depth=2
	s_or_b32 exec_lo, exec_lo, s74
	global_load_dwordx2 v[72:73], v[2:3], off offset:16
	s_and_saveexec_b32 s74, s53
	s_cbranch_execz .LBB14_13
; %bb.12:                               ;   in Loop: Header=BB14_7 Depth=2
	s_clause 0x1
	buffer_load_dword v0, off, s[80:83], 0 offset:24
	buffer_load_dword v1, off, s[80:83], 0 offset:28
	s_waitcnt vmcnt(1)
	v_add_co_u32 v0, vcc_lo, v59, v0
	s_waitcnt vmcnt(0)
	v_add_co_ci_u32_e64 v1, null, v48, v1, vcc_lo
	global_load_dwordx2 v[68:69], v[0:1], off
.LBB14_13:                              ;   in Loop: Header=BB14_7 Depth=2
	s_or_b32 exec_lo, exec_lo, s74
	global_load_dwordx2 v[74:75], v[2:3], off offset:24
	v_mov_b32_e32 v76, 0
	v_mov_b32_e32 v78, 0
	v_mov_b32_e32 v77, 0
	v_mov_b32_e32 v79, 0
	s_and_saveexec_b32 s74, s54
	s_cbranch_execz .LBB14_15
; %bb.14:                               ;   in Loop: Header=BB14_7 Depth=2
	s_clause 0x1
	buffer_load_dword v0, off, s[80:83], 0 offset:32
	buffer_load_dword v1, off, s[80:83], 0 offset:36
	s_waitcnt vmcnt(1)
	v_add_co_u32 v0, vcc_lo, v59, v0
	s_waitcnt vmcnt(0)
	v_add_co_ci_u32_e64 v1, null, v48, v1, vcc_lo
	global_load_dwordx2 v[78:79], v[0:1], off
.LBB14_15:                              ;   in Loop: Header=BB14_7 Depth=2
	s_or_b32 exec_lo, exec_lo, s74
	global_load_dwordx2 v[80:81], v[2:3], off offset:32
	s_and_saveexec_b32 s74, s55
	s_cbranch_execz .LBB14_17
; %bb.16:                               ;   in Loop: Header=BB14_7 Depth=2
	s_clause 0x1
	buffer_load_dword v0, off, s[80:83], 0 offset:40
	buffer_load_dword v1, off, s[80:83], 0 offset:44
	s_waitcnt vmcnt(1)
	v_add_co_u32 v0, vcc_lo, v59, v0
	s_waitcnt vmcnt(0)
	v_add_co_ci_u32_e64 v1, null, v48, v1, vcc_lo
	global_load_dwordx2 v[76:77], v[0:1], off
.LBB14_17:                              ;   in Loop: Header=BB14_7 Depth=2
	;; [unrolled: 32-line block ×10, first 2 shown]
	s_or_b32 exec_lo, exec_lo, s74
	global_load_dwordx2 v[22:23], v[2:3], off offset:168
	v_mov_b32_e32 v24, 0
	v_mov_b32_e32 v26, 0
	;; [unrolled: 1-line block ×4, first 2 shown]
	s_and_saveexec_b32 s74, s72
	s_cbranch_execz .LBB14_51
; %bb.50:                               ;   in Loop: Header=BB14_7 Depth=2
	s_clause 0x1
	buffer_load_dword v26, off, s[80:83], 0 offset:176
	buffer_load_dword v27, off, s[80:83], 0 offset:180
	s_waitcnt vmcnt(1)
	v_add_co_u32 v26, vcc_lo, v59, v26
	s_waitcnt vmcnt(0)
	v_add_co_ci_u32_e64 v27, null, v48, v27, vcc_lo
	global_load_dwordx2 v[26:27], v[26:27], off
.LBB14_51:                              ;   in Loop: Header=BB14_7 Depth=2
	s_or_b32 exec_lo, exec_lo, s74
	global_load_dwordx2 v[28:29], v[2:3], off offset:176
	s_and_saveexec_b32 s74, s2
	s_cbranch_execz .LBB14_53
; %bb.52:                               ;   in Loop: Header=BB14_7 Depth=2
	v_add_co_u32 v24, vcc_lo, v59, v50
	v_add_co_ci_u32_e64 v25, null, v48, v51, vcc_lo
	global_load_dwordx2 v[24:25], v[24:25], off
.LBB14_53:                              ;   in Loop: Header=BB14_7 Depth=2
	s_or_b32 exec_lo, exec_lo, s74
	global_load_dwordx2 v[30:31], v[2:3], off offset:184
	v_mov_b32_e32 v32, 0
	v_mov_b32_e32 v34, 0
	v_mov_b32_e32 v33, 0
	v_mov_b32_e32 v35, 0
	s_and_saveexec_b32 s74, s3
	s_cbranch_execz .LBB14_55
; %bb.54:                               ;   in Loop: Header=BB14_7 Depth=2
	v_add_co_u32 v34, vcc_lo, v59, v52
	v_add_co_ci_u32_e64 v35, null, v48, v53, vcc_lo
	global_load_dwordx2 v[34:35], v[34:35], off
.LBB14_55:                              ;   in Loop: Header=BB14_7 Depth=2
	s_or_b32 exec_lo, exec_lo, s74
	global_load_dwordx2 v[36:37], v[2:3], off offset:192
	s_and_saveexec_b32 s74, s73
	s_cbranch_execz .LBB14_57
; %bb.56:                               ;   in Loop: Header=BB14_7 Depth=2
	v_add_co_u32 v32, vcc_lo, v59, v54
	v_add_co_ci_u32_e64 v33, null, v48, v55, vcc_lo
	global_load_dwordx2 v[32:33], v[32:33], off
.LBB14_57:                              ;   in Loop: Header=BB14_7 Depth=2
	s_or_b32 exec_lo, exec_lo, s74
	global_load_dwordx2 v[38:39], v[2:3], off offset:200
	v_mov_b32_e32 v40, 0
	v_mov_b32_e32 v42, 0
	;; [unrolled: 1-line block ×4, first 2 shown]
	s_and_saveexec_b32 s74, s1
	s_cbranch_execz .LBB14_59
; %bb.58:                               ;   in Loop: Header=BB14_7 Depth=2
	v_add_co_u32 v42, vcc_lo, v59, v56
	v_add_co_ci_u32_e64 v43, null, v48, v57, vcc_lo
	global_load_dwordx2 v[42:43], v[42:43], off
.LBB14_59:                              ;   in Loop: Header=BB14_7 Depth=2
	s_or_b32 exec_lo, exec_lo, s74
	global_load_dwordx2 v[44:45], v[2:3], off offset:208
	s_and_saveexec_b32 s74, s4
	s_cbranch_execz .LBB14_6
; %bb.60:                               ;   in Loop: Header=BB14_7 Depth=2
	v_add_co_u32 v40, vcc_lo, v59, v60
	v_add_co_ci_u32_e64 v41, null, v48, v61, vcc_lo
	global_load_dwordx2 v[40:41], v[40:41], off
	s_branch .LBB14_6
.LBB14_61:                              ;   in Loop: Header=BB14_4 Depth=1
	v_mov_b32_e32 v4, 0
	v_mov_b32_e32 v5, 0
	s_branch .LBB14_3
.LBB14_62:
	s_endpgm
	.section	.rodata,"a",@progbits
	.p2align	6, 0x0
	.amdhsa_kernel _ZN2at6native12_GLOBAL__N_143conv_depthwise3d_cuda_backward_input_kernelIddLi3ELi3ELi3ELin1ELin1ELin1ELi1ELi1ELi1EEEvN5torch10headeronly6detail27GenericPackedTensorAccessorINS5_14TensorAccessorIN3c108ArrayRefIlEEKT_Lm4ENS4_16DefaultPtrTraitsEiEENS_6detail16IndexBoundsCheckILm5EiEESC_Lm5ESD_iEENS6_INS7_ISA_SB_Lm4ESD_iEESH_SB_Lm5ESD_iEESI_iiiiiiiii
		.amdhsa_group_segment_fixed_size 0
		.amdhsa_private_segment_fixed_size 228
		.amdhsa_kernarg_size 440
		.amdhsa_user_sgpr_count 6
		.amdhsa_user_sgpr_private_segment_buffer 1
		.amdhsa_user_sgpr_dispatch_ptr 0
		.amdhsa_user_sgpr_queue_ptr 0
		.amdhsa_user_sgpr_kernarg_segment_ptr 1
		.amdhsa_user_sgpr_dispatch_id 0
		.amdhsa_user_sgpr_flat_scratch_init 0
		.amdhsa_user_sgpr_private_segment_size 0
		.amdhsa_wavefront_size32 1
		.amdhsa_uses_dynamic_stack 0
		.amdhsa_system_sgpr_private_segment_wavefront_offset 1
		.amdhsa_system_sgpr_workgroup_id_x 1
		.amdhsa_system_sgpr_workgroup_id_y 0
		.amdhsa_system_sgpr_workgroup_id_z 0
		.amdhsa_system_sgpr_workgroup_info 0
		.amdhsa_system_vgpr_workitem_id 0
		.amdhsa_next_free_vgpr 128
		.amdhsa_next_free_sgpr 84
		.amdhsa_reserve_vcc 1
		.amdhsa_reserve_flat_scratch 0
		.amdhsa_float_round_mode_32 0
		.amdhsa_float_round_mode_16_64 0
		.amdhsa_float_denorm_mode_32 3
		.amdhsa_float_denorm_mode_16_64 3
		.amdhsa_dx10_clamp 1
		.amdhsa_ieee_mode 1
		.amdhsa_fp16_overflow 0
		.amdhsa_workgroup_processor_mode 1
		.amdhsa_memory_ordered 1
		.amdhsa_forward_progress 1
		.amdhsa_shared_vgpr_count 0
		.amdhsa_exception_fp_ieee_invalid_op 0
		.amdhsa_exception_fp_denorm_src 0
		.amdhsa_exception_fp_ieee_div_zero 0
		.amdhsa_exception_fp_ieee_overflow 0
		.amdhsa_exception_fp_ieee_underflow 0
		.amdhsa_exception_fp_ieee_inexact 0
		.amdhsa_exception_int_div_zero 0
	.end_amdhsa_kernel
	.section	.text._ZN2at6native12_GLOBAL__N_143conv_depthwise3d_cuda_backward_input_kernelIddLi3ELi3ELi3ELin1ELin1ELin1ELi1ELi1ELi1EEEvN5torch10headeronly6detail27GenericPackedTensorAccessorINS5_14TensorAccessorIN3c108ArrayRefIlEEKT_Lm4ENS4_16DefaultPtrTraitsEiEENS_6detail16IndexBoundsCheckILm5EiEESC_Lm5ESD_iEENS6_INS7_ISA_SB_Lm4ESD_iEESH_SB_Lm5ESD_iEESI_iiiiiiiii,"axG",@progbits,_ZN2at6native12_GLOBAL__N_143conv_depthwise3d_cuda_backward_input_kernelIddLi3ELi3ELi3ELin1ELin1ELin1ELi1ELi1ELi1EEEvN5torch10headeronly6detail27GenericPackedTensorAccessorINS5_14TensorAccessorIN3c108ArrayRefIlEEKT_Lm4ENS4_16DefaultPtrTraitsEiEENS_6detail16IndexBoundsCheckILm5EiEESC_Lm5ESD_iEENS6_INS7_ISA_SB_Lm4ESD_iEESH_SB_Lm5ESD_iEESI_iiiiiiiii,comdat
.Lfunc_end14:
	.size	_ZN2at6native12_GLOBAL__N_143conv_depthwise3d_cuda_backward_input_kernelIddLi3ELi3ELi3ELin1ELin1ELin1ELi1ELi1ELi1EEEvN5torch10headeronly6detail27GenericPackedTensorAccessorINS5_14TensorAccessorIN3c108ArrayRefIlEEKT_Lm4ENS4_16DefaultPtrTraitsEiEENS_6detail16IndexBoundsCheckILm5EiEESC_Lm5ESD_iEENS6_INS7_ISA_SB_Lm4ESD_iEESH_SB_Lm5ESD_iEESI_iiiiiiiii, .Lfunc_end14-_ZN2at6native12_GLOBAL__N_143conv_depthwise3d_cuda_backward_input_kernelIddLi3ELi3ELi3ELin1ELin1ELin1ELi1ELi1ELi1EEEvN5torch10headeronly6detail27GenericPackedTensorAccessorINS5_14TensorAccessorIN3c108ArrayRefIlEEKT_Lm4ENS4_16DefaultPtrTraitsEiEENS_6detail16IndexBoundsCheckILm5EiEESC_Lm5ESD_iEENS6_INS7_ISA_SB_Lm4ESD_iEESH_SB_Lm5ESD_iEESI_iiiiiiiii
                                        ; -- End function
	.set _ZN2at6native12_GLOBAL__N_143conv_depthwise3d_cuda_backward_input_kernelIddLi3ELi3ELi3ELin1ELin1ELin1ELi1ELi1ELi1EEEvN5torch10headeronly6detail27GenericPackedTensorAccessorINS5_14TensorAccessorIN3c108ArrayRefIlEEKT_Lm4ENS4_16DefaultPtrTraitsEiEENS_6detail16IndexBoundsCheckILm5EiEESC_Lm5ESD_iEENS6_INS7_ISA_SB_Lm4ESD_iEESH_SB_Lm5ESD_iEESI_iiiiiiiii.num_vgpr, 128
	.set _ZN2at6native12_GLOBAL__N_143conv_depthwise3d_cuda_backward_input_kernelIddLi3ELi3ELi3ELin1ELin1ELin1ELi1ELi1ELi1EEEvN5torch10headeronly6detail27GenericPackedTensorAccessorINS5_14TensorAccessorIN3c108ArrayRefIlEEKT_Lm4ENS4_16DefaultPtrTraitsEiEENS_6detail16IndexBoundsCheckILm5EiEESC_Lm5ESD_iEENS6_INS7_ISA_SB_Lm4ESD_iEESH_SB_Lm5ESD_iEESI_iiiiiiiii.num_agpr, 0
	.set _ZN2at6native12_GLOBAL__N_143conv_depthwise3d_cuda_backward_input_kernelIddLi3ELi3ELi3ELin1ELin1ELin1ELi1ELi1ELi1EEEvN5torch10headeronly6detail27GenericPackedTensorAccessorINS5_14TensorAccessorIN3c108ArrayRefIlEEKT_Lm4ENS4_16DefaultPtrTraitsEiEENS_6detail16IndexBoundsCheckILm5EiEESC_Lm5ESD_iEENS6_INS7_ISA_SB_Lm4ESD_iEESH_SB_Lm5ESD_iEESI_iiiiiiiii.numbered_sgpr, 84
	.set _ZN2at6native12_GLOBAL__N_143conv_depthwise3d_cuda_backward_input_kernelIddLi3ELi3ELi3ELin1ELin1ELin1ELi1ELi1ELi1EEEvN5torch10headeronly6detail27GenericPackedTensorAccessorINS5_14TensorAccessorIN3c108ArrayRefIlEEKT_Lm4ENS4_16DefaultPtrTraitsEiEENS_6detail16IndexBoundsCheckILm5EiEESC_Lm5ESD_iEENS6_INS7_ISA_SB_Lm4ESD_iEESH_SB_Lm5ESD_iEESI_iiiiiiiii.num_named_barrier, 0
	.set _ZN2at6native12_GLOBAL__N_143conv_depthwise3d_cuda_backward_input_kernelIddLi3ELi3ELi3ELin1ELin1ELin1ELi1ELi1ELi1EEEvN5torch10headeronly6detail27GenericPackedTensorAccessorINS5_14TensorAccessorIN3c108ArrayRefIlEEKT_Lm4ENS4_16DefaultPtrTraitsEiEENS_6detail16IndexBoundsCheckILm5EiEESC_Lm5ESD_iEENS6_INS7_ISA_SB_Lm4ESD_iEESH_SB_Lm5ESD_iEESI_iiiiiiiii.private_seg_size, 228
	.set _ZN2at6native12_GLOBAL__N_143conv_depthwise3d_cuda_backward_input_kernelIddLi3ELi3ELi3ELin1ELin1ELin1ELi1ELi1ELi1EEEvN5torch10headeronly6detail27GenericPackedTensorAccessorINS5_14TensorAccessorIN3c108ArrayRefIlEEKT_Lm4ENS4_16DefaultPtrTraitsEiEENS_6detail16IndexBoundsCheckILm5EiEESC_Lm5ESD_iEENS6_INS7_ISA_SB_Lm4ESD_iEESH_SB_Lm5ESD_iEESI_iiiiiiiii.uses_vcc, 1
	.set _ZN2at6native12_GLOBAL__N_143conv_depthwise3d_cuda_backward_input_kernelIddLi3ELi3ELi3ELin1ELin1ELin1ELi1ELi1ELi1EEEvN5torch10headeronly6detail27GenericPackedTensorAccessorINS5_14TensorAccessorIN3c108ArrayRefIlEEKT_Lm4ENS4_16DefaultPtrTraitsEiEENS_6detail16IndexBoundsCheckILm5EiEESC_Lm5ESD_iEENS6_INS7_ISA_SB_Lm4ESD_iEESH_SB_Lm5ESD_iEESI_iiiiiiiii.uses_flat_scratch, 0
	.set _ZN2at6native12_GLOBAL__N_143conv_depthwise3d_cuda_backward_input_kernelIddLi3ELi3ELi3ELin1ELin1ELin1ELi1ELi1ELi1EEEvN5torch10headeronly6detail27GenericPackedTensorAccessorINS5_14TensorAccessorIN3c108ArrayRefIlEEKT_Lm4ENS4_16DefaultPtrTraitsEiEENS_6detail16IndexBoundsCheckILm5EiEESC_Lm5ESD_iEENS6_INS7_ISA_SB_Lm4ESD_iEESH_SB_Lm5ESD_iEESI_iiiiiiiii.has_dyn_sized_stack, 0
	.set _ZN2at6native12_GLOBAL__N_143conv_depthwise3d_cuda_backward_input_kernelIddLi3ELi3ELi3ELin1ELin1ELin1ELi1ELi1ELi1EEEvN5torch10headeronly6detail27GenericPackedTensorAccessorINS5_14TensorAccessorIN3c108ArrayRefIlEEKT_Lm4ENS4_16DefaultPtrTraitsEiEENS_6detail16IndexBoundsCheckILm5EiEESC_Lm5ESD_iEENS6_INS7_ISA_SB_Lm4ESD_iEESH_SB_Lm5ESD_iEESI_iiiiiiiii.has_recursion, 0
	.set _ZN2at6native12_GLOBAL__N_143conv_depthwise3d_cuda_backward_input_kernelIddLi3ELi3ELi3ELin1ELin1ELin1ELi1ELi1ELi1EEEvN5torch10headeronly6detail27GenericPackedTensorAccessorINS5_14TensorAccessorIN3c108ArrayRefIlEEKT_Lm4ENS4_16DefaultPtrTraitsEiEENS_6detail16IndexBoundsCheckILm5EiEESC_Lm5ESD_iEENS6_INS7_ISA_SB_Lm4ESD_iEESH_SB_Lm5ESD_iEESI_iiiiiiiii.has_indirect_call, 0
	.section	.AMDGPU.csdata,"",@progbits
; Kernel info:
; codeLenInByte = 5516
; TotalNumSgprs: 86
; NumVgprs: 128
; ScratchSize: 228
; MemoryBound: 0
; FloatMode: 240
; IeeeMode: 1
; LDSByteSize: 0 bytes/workgroup (compile time only)
; SGPRBlocks: 0
; VGPRBlocks: 15
; NumSGPRsForWavesPerEU: 86
; NumVGPRsForWavesPerEU: 128
; Occupancy: 8
; WaveLimiterHint : 0
; COMPUTE_PGM_RSRC2:SCRATCH_EN: 1
; COMPUTE_PGM_RSRC2:USER_SGPR: 6
; COMPUTE_PGM_RSRC2:TRAP_HANDLER: 0
; COMPUTE_PGM_RSRC2:TGID_X_EN: 1
; COMPUTE_PGM_RSRC2:TGID_Y_EN: 0
; COMPUTE_PGM_RSRC2:TGID_Z_EN: 0
; COMPUTE_PGM_RSRC2:TIDIG_COMP_CNT: 0
	.section	.text._ZN2at6native12_GLOBAL__N_143conv_depthwise3d_cuda_backward_input_kernelIddLi3ELi3ELi3ELin1ELin1ELin1ELin1ELin1ELin1EEEvN5torch10headeronly6detail27GenericPackedTensorAccessorINS5_14TensorAccessorIN3c108ArrayRefIlEEKT_Lm4ENS4_16DefaultPtrTraitsEiEENS_6detail16IndexBoundsCheckILm5EiEESC_Lm5ESD_iEENS6_INS7_ISA_SB_Lm4ESD_iEESH_SB_Lm5ESD_iEESI_iiiiiiiii,"axG",@progbits,_ZN2at6native12_GLOBAL__N_143conv_depthwise3d_cuda_backward_input_kernelIddLi3ELi3ELi3ELin1ELin1ELin1ELin1ELin1ELin1EEEvN5torch10headeronly6detail27GenericPackedTensorAccessorINS5_14TensorAccessorIN3c108ArrayRefIlEEKT_Lm4ENS4_16DefaultPtrTraitsEiEENS_6detail16IndexBoundsCheckILm5EiEESC_Lm5ESD_iEENS6_INS7_ISA_SB_Lm4ESD_iEESH_SB_Lm5ESD_iEESI_iiiiiiiii,comdat
	.globl	_ZN2at6native12_GLOBAL__N_143conv_depthwise3d_cuda_backward_input_kernelIddLi3ELi3ELi3ELin1ELin1ELin1ELin1ELin1ELin1EEEvN5torch10headeronly6detail27GenericPackedTensorAccessorINS5_14TensorAccessorIN3c108ArrayRefIlEEKT_Lm4ENS4_16DefaultPtrTraitsEiEENS_6detail16IndexBoundsCheckILm5EiEESC_Lm5ESD_iEENS6_INS7_ISA_SB_Lm4ESD_iEESH_SB_Lm5ESD_iEESI_iiiiiiiii ; -- Begin function _ZN2at6native12_GLOBAL__N_143conv_depthwise3d_cuda_backward_input_kernelIddLi3ELi3ELi3ELin1ELin1ELin1ELin1ELin1ELin1EEEvN5torch10headeronly6detail27GenericPackedTensorAccessorINS5_14TensorAccessorIN3c108ArrayRefIlEEKT_Lm4ENS4_16DefaultPtrTraitsEiEENS_6detail16IndexBoundsCheckILm5EiEESC_Lm5ESD_iEENS6_INS7_ISA_SB_Lm4ESD_iEESH_SB_Lm5ESD_iEESI_iiiiiiiii
	.p2align	8
	.type	_ZN2at6native12_GLOBAL__N_143conv_depthwise3d_cuda_backward_input_kernelIddLi3ELi3ELi3ELin1ELin1ELin1ELin1ELin1ELin1EEEvN5torch10headeronly6detail27GenericPackedTensorAccessorINS5_14TensorAccessorIN3c108ArrayRefIlEEKT_Lm4ENS4_16DefaultPtrTraitsEiEENS_6detail16IndexBoundsCheckILm5EiEESC_Lm5ESD_iEENS6_INS7_ISA_SB_Lm4ESD_iEESH_SB_Lm5ESD_iEESI_iiiiiiiii,@function
_ZN2at6native12_GLOBAL__N_143conv_depthwise3d_cuda_backward_input_kernelIddLi3ELi3ELi3ELin1ELin1ELin1ELin1ELin1ELin1EEEvN5torch10headeronly6detail27GenericPackedTensorAccessorINS5_14TensorAccessorIN3c108ArrayRefIlEEKT_Lm4ENS4_16DefaultPtrTraitsEiEENS_6detail16IndexBoundsCheckILm5EiEESC_Lm5ESD_iEENS6_INS7_ISA_SB_Lm4ESD_iEESH_SB_Lm5ESD_iEESI_iiiiiiiii: ; @_ZN2at6native12_GLOBAL__N_143conv_depthwise3d_cuda_backward_input_kernelIddLi3ELi3ELi3ELin1ELin1ELin1ELin1ELin1ELin1EEEvN5torch10headeronly6detail27GenericPackedTensorAccessorINS5_14TensorAccessorIN3c108ArrayRefIlEEKT_Lm4ENS4_16DefaultPtrTraitsEiEENS_6detail16IndexBoundsCheckILm5EiEESC_Lm5ESD_iEENS6_INS7_ISA_SB_Lm4ESD_iEESH_SB_Lm5ESD_iEESI_iiiiiiiii
; %bb.0:
	s_mov_b64 s[102:103], s[2:3]
	s_mov_b64 s[100:101], s[0:1]
	s_clause 0x2
	s_load_dwordx4 s[44:47], s[4:5], 0x38
	s_load_dword s2, s[4:5], 0xc4
	s_load_dwordx2 s[64:65], s[4:5], 0x48
	s_add_u32 s100, s100, s7
	s_addc_u32 s101, s101, 0
                                        ; implicit-def: $vgpr127 : SGPR spill to VGPR lane
	s_waitcnt lgkmcnt(0)
	s_abs_i32 s76, s45
	s_add_u32 s0, s4, 0xb8
	v_cvt_f32_u32_e32 v1, s76
	s_addc_u32 s1, s5, 0
	s_and_b32 s2, s2, 0xffff
	v_rcp_iflag_f32_e32 v2, v1
	v_mov_b32_e32 v1, 0
	v_mad_u64_u32 v[14:15], null, s2, s6, v[0:1]
	s_mul_i32 s6, s65, s44
	v_mul_f32_e32 v2, 0x4f7ffffe, v2
	s_ashr_i32 s7, s6, 31
	v_writelane_b32 v127, s6, 0
	v_cmp_gt_i64_e32 vcc_lo, s[6:7], v[14:15]
	v_cvt_u32_f32_e32 v0, v2
	v_writelane_b32 v127, s7, 1
	v_readfirstlane_b32 s3, v0
	s_and_saveexec_b32 s6, vcc_lo
	s_cbranch_execz .LBB15_62
; %bb.1:
	s_clause 0x1
	s_load_dwordx4 s[56:59], s[4:5], 0xc
	s_load_dwordx2 s[12:13], s[4:5], 0x0
	s_sub_i32 s6, 0, s76
	s_load_dword s11, s[4:5], 0x7c
	s_mul_i32 s7, s6, s3
	s_load_dword s0, s[0:1], 0x0
	s_mul_hi_u32 s7, s3, s7
	s_load_dwordx8 s[48:55], s[4:5], 0x90
	s_add_i32 s3, s3, s7
	s_ashr_i32 s9, s45, 31
	s_load_dword s10, s[4:5], 0xb0
	v_mul_lo_u32 v1, s6, v0
	s_clause 0x3
	s_load_dwordx2 s[70:71], s[4:5], 0x1c
	s_load_dwordx2 s[72:73], s[4:5], 0x30
	;; [unrolled: 1-line block ×3, first 2 shown]
	s_load_dwordx4 s[60:63], s[4:5], 0x50
	s_mov_b32 s78, 0
	v_mul_hi_u32 v1, v0, v1
	s_waitcnt lgkmcnt(0)
	s_abs_i32 s7, s56
	v_writelane_b32 v127, s12, 2
	s_mul_hi_u32 s1, s7, s3
	s_ashr_i32 s3, s56, 31
	s_mul_i32 s8, s1, s76
	s_xor_b32 s3, s3, s9
	v_writelane_b32 v127, s13, 3
	s_sub_i32 s7, s7, s8
	s_add_i32 s8, s1, 1
	s_mul_i32 s0, s0, s2
	v_add_nc_u32_e32 v0, v0, v1
	v_writelane_b32 v127, s9, 4
	s_sub_i32 s9, s7, s76
	s_cmp_ge_u32 s7, s76
	s_cselect_b32 s1, s8, s1
	s_cselect_b32 s7, s9, s7
	s_add_i32 s8, s1, 1
	s_cmp_ge_u32 s7, s76
	v_writelane_b32 v127, s11, 5
	s_cselect_b32 s1, s8, s1
	buffer_store_dword v0, off, s[100:103], 0 offset:224 ; 4-byte Folded Spill
	s_xor_b32 s1, s1, s3
	s_sub_i32 s80, s1, s3
	v_writelane_b32 v127, s0, 6
	s_cmp_gt_i32 s80, 0
	s_cselect_b32 s0, -1, 0
	s_abs_i32 s86, s64
	s_abs_i32 s89, s48
	v_cvt_f32_u32_e32 v2, s86
	v_cvt_f32_u32_e32 v5, s89
	v_writelane_b32 v127, s0, 7
	s_abs_i32 s87, s47
	s_abs_i32 s90, s49
	v_cvt_f32_u32_e32 v3, s87
	v_rcp_iflag_f32_e32 v2, v2
	v_cvt_f32_u32_e32 v6, s90
	v_rcp_iflag_f32_e32 v5, v5
	v_writelane_b32 v127, s10, 8
	s_abs_i32 s88, s46
	s_abs_i32 s91, s50
	v_cvt_f32_u32_e32 v4, s88
	v_cvt_f32_u32_e32 v7, s91
	v_rcp_iflag_f32_e32 v3, v3
	v_rcp_iflag_f32_e32 v6, v6
	s_lshl_b32 s0, s10, 1
	v_rcp_iflag_f32_e32 v4, v4
	v_writelane_b32 v127, s0, 9
	v_rcp_iflag_f32_e32 v7, v7
	v_mul_f32_e32 v2, 0x4f7ffffe, v2
	v_mul_f32_e32 v5, 0x4f7ffffe, v5
	s_lshl_b32 s0, s55, 1
	s_sub_i32 s3, 0, s89
	v_writelane_b32 v127, s0, 10
	v_mul_f32_e32 v3, 0x4f7ffffe, v3
	v_cvt_u32_f32_e32 v2, v2
	v_mul_f32_e32 v6, 0x4f7ffffe, v6
	v_cvt_u32_f32_e32 v5, v5
	s_lshl_b32 s0, s54, 1
	v_mul_f32_e32 v4, 0x4f7ffffe, v4
	v_writelane_b32 v127, s0, 11
	s_sub_i32 s0, 0, s86
	v_mul_f32_e32 v7, 0x4f7ffffe, v7
	v_cvt_u32_f32_e32 v3, v3
	v_mul_lo_u32 v8, s0, v2
	v_cvt_u32_f32_e32 v6, v6
	v_mul_lo_u32 v11, s3, v5
	s_sub_i32 s1, 0, s87
	s_sub_i32 s4, 0, s90
	v_cvt_u32_f32_e32 v4, v4
	v_mul_lo_u32 v9, s1, v3
	v_cvt_u32_f32_e32 v7, v7
	v_mul_lo_u32 v12, s4, v6
	s_sub_i32 s2, 0, s88
	s_sub_i32 s0, 0, s91
	v_mul_hi_u32 v8, v2, v8
	v_mul_hi_u32 v11, v5, v11
	v_mul_lo_u32 v10, s2, v4
	v_mul_lo_u32 v13, s0, v7
	v_mul_hi_u32 v9, v3, v9
	v_mul_hi_u32 v12, v6, v12
	s_ashr_i32 s0, s64, 31
	s_ashr_i32 s95, s48, 31
	v_writelane_b32 v127, s0, 12
	v_add_nc_u32_e32 v2, v2, v8
	v_add_nc_u32_e32 v0, v5, v11
	v_mul_hi_u32 v10, v4, v10
	v_mul_hi_u32 v13, v7, v13
	s_ashr_i32 s0, s47, 31
	buffer_store_dword v2, off, s[100:103], 0 offset:212 ; 4-byte Folded Spill
	v_writelane_b32 v127, s0, 13
	v_add_nc_u32_e32 v2, v3, v9
	buffer_store_dword v0, off, s[100:103], 0 offset:228 ; 4-byte Folded Spill
	v_add_nc_u32_e32 v0, v6, v12
	s_ashr_i32 s0, s46, 31
	s_ashr_i32 s96, s49, 31
	buffer_store_dword v2, off, s[100:103], 0 offset:216 ; 4-byte Folded Spill
	v_writelane_b32 v127, s0, 14
	v_add_nc_u32_e32 v2, v4, v10
	buffer_store_dword v0, off, s[100:103], 0 offset:232 ; 4-byte Folded Spill
	v_add_nc_u32_e32 v0, v7, v13
	s_ashr_i32 s97, s50, 31
	buffer_store_dword v2, off, s[100:103], 0 offset:220 ; 4-byte Folded Spill
	buffer_store_dword v0, off, s[100:103], 0 offset:236 ; 4-byte Folded Spill
	s_branch .LBB15_4
.LBB15_2:                               ;   in Loop: Header=BB15_4 Depth=1
	s_or_b32 exec_lo, exec_lo, s41
	s_clause 0x6
	buffer_load_dword v14, off, s[100:103], 0 offset:184
	buffer_load_dword v15, off, s[100:103], 0 offset:188
	buffer_load_dword v7, off, s[100:103], 0 offset:192
	buffer_load_dword v8, off, s[100:103], 0 offset:196
	buffer_load_dword v11, off, s[100:103], 0 offset:200
	buffer_load_dword v16, off, s[100:103], 0 offset:204
	buffer_load_dword v58, off, s[100:103], 0 offset:208
.LBB15_3:                               ;   in Loop: Header=BB15_4 Depth=1
	s_waitcnt vmcnt(1)
	v_mul_lo_u32 v0, v16, s65
	s_waitcnt vmcnt(0)
	v_mul_lo_u32 v2, s60, v58
	v_mul_lo_u32 v4, s61, v11
	v_readlane_b32 s0, v127, 6
	v_mul_lo_u32 v6, s62, v8
	v_mul_lo_u32 v8, s63, v7
	v_add_co_u32 v14, vcc_lo, v14, s0
	v_ashrrev_i32_e32 v1, 31, v0
	v_ashrrev_i32_e32 v3, 31, v2
	;; [unrolled: 1-line block ×3, first 2 shown]
	v_add_co_ci_u32_e64 v15, null, 0, v15, vcc_lo
	v_lshlrev_b64 v[0:1], 3, v[0:1]
	v_lshlrev_b64 v[2:3], 3, v[2:3]
	v_ashrrev_i32_e32 v7, 31, v6
	v_ashrrev_i32_e32 v9, 31, v8
	v_readlane_b32 s0, v127, 0
	v_readlane_b32 s1, v127, 1
	v_add_co_u32 v10, vcc_lo, s72, v0
	v_add_co_ci_u32_e64 v11, null, s73, v1, vcc_lo
	v_lshlrev_b64 v[0:1], 3, v[4:5]
	v_add_co_u32 v4, vcc_lo, v10, v2
	v_add_co_ci_u32_e64 v5, null, v11, v3, vcc_lo
	v_lshlrev_b64 v[2:3], 3, v[6:7]
	;; [unrolled: 3-line block ×3, first 2 shown]
	v_add_co_u32 v2, vcc_lo, v4, v2
	v_add_co_ci_u32_e64 v3, null, v5, v3, vcc_lo
	v_cmp_le_i64_e32 vcc_lo, s[0:1], v[14:15]
	v_add_co_u32 v0, s0, v2, v0
	v_add_co_ci_u32_e64 v1, null, v3, v1, s0
	s_or_b32 s78, vcc_lo, s78
	global_store_dwordx2 v[0:1], v[60:61], off
	s_andn2_b32 exec_lo, exec_lo, s78
	s_cbranch_execz .LBB15_62
.LBB15_4:                               ; =>This Loop Header: Depth=1
                                        ;     Child Loop BB15_7 Depth 2
	buffer_load_dword v1, off, s[100:103], 0 offset:212 ; 4-byte Folded Reload
	v_sub_nc_u32_e32 v0, 0, v14
	v_readlane_b32 s0, v127, 12
	v_max_i32_e32 v0, v14, v0
	s_waitcnt vmcnt(0)
	v_mul_hi_u32 v1, v0, v1
	v_mul_lo_u32 v2, v1, s86
	v_sub_nc_u32_e32 v0, v0, v2
	v_add_nc_u32_e32 v2, 1, v1
	v_subrev_nc_u32_e32 v3, s86, v0
	v_cmp_le_u32_e32 vcc_lo, s86, v0
	v_cndmask_b32_e32 v1, v1, v2, vcc_lo
	v_cndmask_b32_e32 v0, v0, v3, vcc_lo
	v_ashrrev_i32_e32 v2, 31, v14
	v_add_nc_u32_e32 v3, 1, v1
	v_cmp_le_u32_e32 vcc_lo, s86, v0
	v_xor_b32_e32 v2, s0, v2
	v_readlane_b32 s0, v127, 13
	v_cndmask_b32_e32 v0, v1, v3, vcc_lo
	v_xor_b32_e32 v0, v0, v2
	v_sub_nc_u32_e32 v0, v0, v2
	buffer_load_dword v2, off, s[100:103], 0 offset:216 ; 4-byte Folded Reload
	v_sub_nc_u32_e32 v1, 0, v0
	v_max_i32_e32 v1, v0, v1
	s_waitcnt vmcnt(0)
	v_mul_hi_u32 v2, v1, v2
	v_mul_lo_u32 v3, v2, s87
	v_sub_nc_u32_e32 v1, v1, v3
	v_add_nc_u32_e32 v3, 1, v2
	v_subrev_nc_u32_e32 v4, s87, v1
	v_cmp_le_u32_e32 vcc_lo, s87, v1
	v_cndmask_b32_e32 v2, v2, v3, vcc_lo
	v_cndmask_b32_e32 v1, v1, v4, vcc_lo
	v_ashrrev_i32_e32 v3, 31, v0
	v_add_nc_u32_e32 v4, 1, v2
	v_cmp_le_u32_e32 vcc_lo, s87, v1
	v_xor_b32_e32 v3, s0, v3
	v_readlane_b32 s0, v127, 14
	v_cndmask_b32_e32 v1, v2, v4, vcc_lo
	v_xor_b32_e32 v1, v1, v3
	v_sub_nc_u32_e32 v1, v1, v3
	buffer_load_dword v3, off, s[100:103], 0 offset:220 ; 4-byte Folded Reload
	v_sub_nc_u32_e32 v2, 0, v1
	;; [unrolled: 20-line block ×3, first 2 shown]
	v_max_i32_e32 v3, v2, v3
	s_waitcnt vmcnt(0)
	v_mul_hi_u32 v4, v3, v4
	v_mul_lo_u32 v5, v4, s76
	v_sub_nc_u32_e32 v3, v3, v5
	v_add_nc_u32_e32 v5, 1, v4
	v_subrev_nc_u32_e32 v6, s76, v3
	v_cmp_le_u32_e32 vcc_lo, s76, v3
	v_cndmask_b32_e32 v4, v4, v5, vcc_lo
	v_cndmask_b32_e32 v3, v3, v6, vcc_lo
	v_ashrrev_i32_e32 v5, 31, v2
	v_add_nc_u32_e32 v6, 1, v4
	v_cmp_le_u32_e32 vcc_lo, s76, v3
	v_xor_b32_e32 v5, s0, v5
	v_readlane_b32 s0, v127, 7
	v_cndmask_b32_e32 v3, v4, v6, vcc_lo
	v_mul_lo_u32 v4, v1, s47
	s_andn2_b32 vcc_lo, exec_lo, s0
	v_xor_b32_e32 v3, v3, v5
	v_sub_nc_u32_e32 v8, v0, v4
	v_sub_nc_u32_e32 v16, v3, v5
	v_mul_lo_u32 v3, v0, s64
	v_mul_lo_u32 v5, v2, s46
	v_mul_lo_u32 v6, v16, s45
	v_sub_nc_u32_e32 v7, v14, v3
	v_sub_nc_u32_e32 v11, v1, v5
	v_sub_nc_u32_e32 v58, v2, v6
	s_cbranch_vccnz .LBB15_61
; %bb.5:                                ;   in Loop: Header=BB15_4 Depth=1
	buffer_store_dword v14, off, s[100:103], 0 offset:184 ; 4-byte Folded Spill
	buffer_store_dword v15, off, s[100:103], 0 offset:188 ; 4-byte Folded Spill
	;; [unrolled: 1-line block ×3, first 2 shown]
	v_add_nc_u32_e32 v4, s53, v7
	s_clause 0x2
	buffer_load_dword v7, off, s[100:103], 0 offset:236
	buffer_load_dword v10, off, s[100:103], 0 offset:232
	;; [unrolled: 1-line block ×3, first 2 shown]
	v_mul_lo_u32 v126, v58, s80
	v_readlane_b32 s0, v127, 5
	v_readlane_b32 s1, v127, 9
	buffer_store_dword v8, off, s[100:103], 0 offset:196 ; 4-byte Folded Spill
	buffer_store_dword v11, off, s[100:103], 0 offset:200 ; 4-byte Folded Spill
	;; [unrolled: 1-line block ×3, first 2 shown]
	v_mov_b32_e32 v60, 0
	v_mov_b32_e32 v61, 0
	v_mul_lo_u32 v0, s0, v126
	v_readlane_b32 s0, v127, 8
	v_ashrrev_i32_e32 v1, 31, v0
	v_lshlrev_b64 v[0:1], 3, v[0:1]
	v_add_co_u32 v2, vcc_lo, s74, v0
	v_add_co_ci_u32_e64 v3, null, s75, v1, vcc_lo
	v_subrev_nc_u32_e32 v1, s0, v4
	v_sub_nc_u32_e32 v0, 0, v1
	v_max_i32_e32 v0, v1, v0
	s_waitcnt vmcnt(2)
	v_mul_hi_u32 v5, v0, v7
	v_mul_lo_u32 v6, v5, s91
	v_sub_nc_u32_e32 v0, v0, v6
	v_add_nc_u32_e32 v6, 1, v5
	v_cmp_le_u32_e32 vcc_lo, s91, v0
	v_cndmask_b32_e32 v5, v5, v6, vcc_lo
	v_subrev_nc_u32_e32 v6, s91, v0
	v_cndmask_b32_e32 v0, v0, v6, vcc_lo
	v_add_nc_u32_e32 v6, 1, v5
	v_cmp_le_u32_e32 vcc_lo, s91, v0
	v_cndmask_b32_e32 v0, v5, v6, vcc_lo
	v_ashrrev_i32_e32 v5, 31, v1
	v_xor_b32_e32 v5, s97, v5
	v_xor_b32_e32 v0, v0, v5
	v_sub_nc_u32_e32 v0, v0, v5
	v_mul_lo_u32 v5, v0, s50
	v_cmp_gt_i32_e64 s43, s59, v0
	v_cmp_eq_u32_e32 vcc_lo, v5, v1
	v_sub_nc_u32_e32 v1, 0, v4
	v_max_i32_e32 v1, v4, v1
	v_mul_hi_u32 v5, v1, v7
	v_mul_lo_u32 v6, v5, s91
	v_sub_nc_u32_e32 v1, v1, v6
	v_add_nc_u32_e32 v6, 1, v5
	v_cmp_le_u32_e64 s0, s91, v1
	v_cndmask_b32_e64 v5, v5, v6, s0
	v_subrev_nc_u32_e32 v6, s91, v1
	v_cndmask_b32_e64 v1, v1, v6, s0
	v_add_nc_u32_e32 v6, 1, v5
	v_cmp_le_u32_e64 s0, s91, v1
	v_cndmask_b32_e64 v1, v5, v6, s0
	v_ashrrev_i32_e32 v5, 31, v4
	v_xor_b32_e32 v5, s97, v5
	v_xor_b32_e32 v1, v1, v5
	v_sub_nc_u32_e32 v1, v1, v5
	v_mul_lo_u32 v5, v1, s50
	v_cmp_gt_i32_e64 s42, s59, v1
	v_cmp_eq_u32_e64 s0, v5, v4
	v_subrev_nc_u32_e32 v5, s1, v4
	v_sub_nc_u32_e32 v4, 0, v5
	v_max_i32_e32 v4, v5, v4
	v_mul_hi_u32 v6, v4, v7
	v_mul_lo_u32 v7, v6, s91
	v_sub_nc_u32_e32 v4, v4, v7
	v_add_nc_u32_e32 v7, 1, v6
	v_cmp_le_u32_e64 s1, s91, v4
	v_cndmask_b32_e64 v6, v6, v7, s1
	v_subrev_nc_u32_e32 v7, s91, v4
	v_cndmask_b32_e64 v4, v4, v7, s1
	v_add_nc_u32_e32 v7, 1, v6
	v_cmp_le_u32_e64 s1, s91, v4
	v_cndmask_b32_e64 v4, v6, v7, s1
	v_ashrrev_i32_e32 v6, 31, v5
	v_add_nc_u32_e32 v7, s52, v8
	v_xor_b32_e32 v6, s97, v6
	v_xor_b32_e32 v4, v4, v6
	v_sub_nc_u32_e32 v4, v4, v6
	v_mul_lo_u32 v6, v4, s50
	v_cmp_gt_i32_e64 s44, s59, v4
	v_cmp_eq_u32_e64 s1, v6, v5
	v_subrev_nc_u32_e32 v6, s55, v7
	v_sub_nc_u32_e32 v5, 0, v6
	v_max_i32_e32 v5, v6, v5
	s_waitcnt vmcnt(1)
	v_mul_hi_u32 v8, v5, v10
	v_mul_lo_u32 v9, v8, s90
	v_sub_nc_u32_e32 v5, v5, v9
	v_add_nc_u32_e32 v9, 1, v8
	v_cmp_le_u32_e64 s2, s90, v5
	v_cndmask_b32_e64 v8, v8, v9, s2
	v_subrev_nc_u32_e32 v9, s90, v5
	v_cndmask_b32_e64 v5, v5, v9, s2
	v_add_nc_u32_e32 v9, 1, v8
	v_cmp_le_u32_e64 s2, s90, v5
	v_cndmask_b32_e64 v5, v8, v9, s2
	v_ashrrev_i32_e32 v8, 31, v6
	v_xor_b32_e32 v8, s96, v8
	v_xor_b32_e32 v5, v5, v8
	v_sub_nc_u32_e32 v5, v5, v8
	v_mul_lo_u32 v8, v5, s49
	v_cmp_gt_i32_e64 s36, s58, v5
	s_and_b32 s93, s42, s36
	s_and_b32 s94, s43, s36
	v_cmp_eq_u32_e64 s2, v8, v6
	v_sub_nc_u32_e32 v6, 0, v7
	s_and_b32 s66, s44, s36
	v_max_i32_e32 v6, v7, v6
	v_mul_hi_u32 v8, v6, v10
	v_mul_lo_u32 v9, v8, s90
	v_sub_nc_u32_e32 v6, v6, v9
	v_subrev_nc_u32_e32 v9, s90, v6
	v_cmp_le_u32_e64 s3, s90, v6
	v_cndmask_b32_e64 v6, v6, v9, s3
	v_add_nc_u32_e32 v9, 1, v8
	v_cndmask_b32_e64 v8, v8, v9, s3
	v_cmp_le_u32_e64 s3, s90, v6
	v_add_nc_u32_e32 v9, 1, v8
	v_cndmask_b32_e64 v6, v8, v9, s3
	v_ashrrev_i32_e32 v8, 31, v7
	v_readlane_b32 s3, v127, 10
	v_xor_b32_e32 v8, s96, v8
	v_xor_b32_e32 v6, v6, v8
	v_sub_nc_u32_e32 v6, v6, v8
	v_mul_lo_u32 v8, v6, s49
	v_cmp_gt_i32_e64 s37, s58, v6
	s_and_b32 s81, s42, s37
	s_and_b32 s82, s43, s37
	v_cmp_eq_u32_e64 s4, v8, v7
	v_subrev_nc_u32_e32 v8, s3, v7
	s_and_b32 s92, s44, s37
	v_sub_nc_u32_e32 v7, 0, v8
	v_max_i32_e32 v7, v8, v7
	v_mul_hi_u32 v9, v7, v10
	v_mul_lo_u32 v10, v9, s90
	v_sub_nc_u32_e32 v7, v7, v10
	v_subrev_nc_u32_e32 v10, s90, v7
	v_cmp_le_u32_e64 s3, s90, v7
	v_cndmask_b32_e64 v7, v7, v10, s3
	v_add_nc_u32_e32 v10, 1, v9
	v_cndmask_b32_e64 v9, v9, v10, s3
	v_cmp_le_u32_e64 s3, s90, v7
	v_add_nc_u32_e32 v10, 1, v9
	v_cndmask_b32_e64 v7, v9, v10, s3
	v_ashrrev_i32_e32 v9, 31, v8
	v_add_nc_u32_e32 v10, s51, v11
	v_xor_b32_e32 v9, s96, v9
	v_xor_b32_e32 v7, v7, v9
	v_sub_nc_u32_e32 v7, v7, v9
	v_mul_lo_u32 v9, v7, s49
	v_or_b32_e32 v19, v0, v7
	v_or_b32_e32 v20, v4, v7
	v_cmp_gt_i32_e64 s35, s58, v7
	v_cmp_eq_u32_e64 s3, v9, v8
	v_subrev_nc_u32_e32 v9, s54, v10
	s_and_b32 s67, s42, s35
	s_and_b32 s68, s43, s35
	;; [unrolled: 1-line block ×3, first 2 shown]
	v_sub_nc_u32_e32 v8, 0, v9
	v_max_i32_e32 v8, v9, v8
	s_waitcnt vmcnt(0)
	v_mul_hi_u32 v11, v8, v13
	v_mul_lo_u32 v12, v11, s89
	v_sub_nc_u32_e32 v8, v8, v12
	v_subrev_nc_u32_e32 v12, s89, v8
	v_cmp_le_u32_e64 s5, s89, v8
	v_cndmask_b32_e64 v8, v8, v12, s5
	v_add_nc_u32_e32 v12, 1, v11
	v_cndmask_b32_e64 v11, v11, v12, s5
	v_cmp_le_u32_e64 s5, s89, v8
	v_add_nc_u32_e32 v12, 1, v11
	v_cndmask_b32_e64 v8, v11, v12, s5
	v_ashrrev_i32_e32 v11, 31, v9
	v_xor_b32_e32 v11, s95, v11
	v_xor_b32_e32 v8, v8, v11
	v_sub_nc_u32_e32 v8, v8, v11
	v_mul_lo_u32 v11, v8, s48
	v_cmp_gt_i32_e64 s33, s57, v8
	v_cmp_eq_u32_e64 s5, v11, v9
	v_sub_nc_u32_e32 v9, 0, v10
	v_max_i32_e32 v9, v10, v9
	v_mul_hi_u32 v11, v9, v13
	v_mul_lo_u32 v12, v11, s89
	v_sub_nc_u32_e32 v9, v9, v12
	v_subrev_nc_u32_e32 v12, s89, v9
	v_cmp_le_u32_e64 s6, s89, v9
	v_cndmask_b32_e64 v9, v9, v12, s6
	v_add_nc_u32_e32 v12, 1, v11
	v_cndmask_b32_e64 v11, v11, v12, s6
	v_cmp_le_u32_e64 s6, s89, v9
	v_add_nc_u32_e32 v12, 1, v11
	v_cndmask_b32_e64 v9, v11, v12, s6
	v_ashrrev_i32_e32 v11, 31, v10
	v_readlane_b32 s6, v127, 11
	v_xor_b32_e32 v11, s95, v11
	v_xor_b32_e32 v9, v9, v11
	v_sub_nc_u32_e32 v9, v9, v11
	v_mul_lo_u32 v11, v9, s48
	v_cmp_gt_i32_e64 s34, s57, v9
	v_cmp_eq_u32_e64 s13, v11, v10
	v_subrev_nc_u32_e32 v11, s6, v10
	s_and_b32 s56, s13, s4
	v_sub_nc_u32_e32 v10, 0, v11
	v_max_i32_e32 v10, v11, v10
	v_mul_hi_u32 v12, v10, v13
	v_mul_lo_u32 v13, v12, s89
	v_sub_nc_u32_e32 v10, v10, v13
	v_subrev_nc_u32_e32 v13, s89, v10
	v_cmp_le_u32_e64 s6, s89, v10
	v_cndmask_b32_e64 v10, v10, v13, s6
	v_add_nc_u32_e32 v13, 1, v12
	v_cndmask_b32_e64 v12, v12, v13, s6
	v_cmp_le_u32_e64 s6, s89, v10
	v_add_nc_u32_e32 v13, 1, v12
	v_cndmask_b32_e64 v10, v12, v13, s6
	v_ashrrev_i32_e32 v12, 31, v11
	v_readlane_b32 s6, v127, 2
	v_readlane_b32 s7, v127, 3
	v_xor_b32_e32 v12, s95, v12
	v_xor_b32_e32 v10, v10, v12
	v_sub_nc_u32_e32 v10, v10, v12
	v_mul_lo_u32 v12, v10, s48
	v_cmp_gt_i32_e64 s28, s57, v10
	v_cmp_eq_u32_e64 s8, v12, v11
	v_mul_lo_u32 v11, s70, v16
	v_ashrrev_i32_e32 v12, 31, v11
	v_lshlrev_b64 v[11:12], 3, v[11:12]
	v_add_co_u32 v11, s6, s6, v11
	buffer_store_dword v11, off, s[100:103], 0 ; 4-byte Folded Spill
	v_add_co_ci_u32_e64 v11, null, s7, v12, s6
	buffer_store_dword v11, off, s[100:103], 0 offset:4 ; 4-byte Folded Spill
	v_or_b32_e32 v11, v1, v6
	v_or_b32_e32 v12, v11, v9
	v_cmp_lt_i32_e64 s7, -1, v12
	v_or_b32_e32 v12, v0, v6
	s_and_b32 s7, s81, s7
	v_or_b32_e32 v13, v12, v9
	s_and_b32 s98, s7, s34
	v_cmp_lt_i32_e64 s6, -1, v13
	v_or_b32_e32 v13, v4, v6
	s_and_b32 s7, s82, s6
	v_or_b32_e32 v14, v13, v9
	s_and_b32 s6, s56, s0
	s_and_b32 s99, s7, s34
	s_and_b32 s7, s56, vcc_lo
	v_cmp_lt_i32_e64 s9, -1, v14
	v_or_b32_e32 v14, v1, v5
	s_and_b32 s9, s92, s9
	v_or_b32_e32 v15, v14, v9
	s_and_b32 s37, s9, s34
	s_and_b32 s9, s56, s1
	;; [unrolled: 1-line block ×3, first 2 shown]
	v_cmp_lt_i32_e64 s12, -1, v15
	v_or_b32_e32 v15, v0, v5
	s_and_b32 s12, s93, s12
	v_or_b32_e32 v16, v15, v9
	s_and_b32 s104, s12, s34
	v_cmp_lt_i32_e64 s10, -1, v16
	v_or_b32_e32 v16, v4, v5
	s_and_b32 s12, s94, s10
	v_or_b32_e32 v17, v16, v9
	s_and_b32 vcc_hi, s12, s34
	s_and_b32 s10, s56, s0
	v_cmp_lt_i32_e64 s11, -1, v17
	v_or_b32_e32 v17, v1, v7
	s_and_b32 s12, s66, s11
	v_or_b32_e32 v18, v17, v9
	s_and_b32 s11, s56, vcc_lo
	s_and_b32 s36, s12, s34
	s_and_b32 s12, s56, s1
	;; [unrolled: 1-line block ×3, first 2 shown]
	v_cmp_lt_i32_e64 s14, -1, v18
	v_or_b32_e32 v18, v19, v9
	s_and_b32 s13, s56, s0
	s_and_b32 s14, s67, s14
	v_cmp_lt_i32_e64 s15, -1, v18
	v_or_b32_e32 v18, v20, v9
	v_mul_lo_u32 v9, v9, s58
	s_and_b32 s42, s14, s34
	s_and_b32 s14, s68, s15
	v_cmp_lt_i32_e64 s27, -1, v18
	v_or_b32_e32 v18, v11, v8
	v_or_b32_e32 v11, v11, v10
	s_and_b32 s43, s14, s34
	s_and_b32 s14, s56, vcc_lo
	s_and_b32 s15, s69, s27
	v_cmp_lt_i32_e64 s18, -1, v18
	v_or_b32_e32 v18, v12, v8
	v_cmp_lt_i32_e64 s24, -1, v11
	v_or_b32_e32 v11, v12, v10
	v_add_nc_u32_e32 v12, v7, v9
	s_and_b32 s18, s81, s18
	v_cmp_lt_i32_e64 s16, -1, v18
	v_or_b32_e32 v18, v13, v8
	v_cmp_lt_i32_e64 s26, -1, v11
	v_or_b32_e32 v11, v13, v10
	v_add_nc_u32_e32 v13, v5, v9
	s_and_b32 s35, s18, s33
	v_cmp_lt_i32_e64 s17, -1, v18
	v_or_b32_e32 v18, v14, v8
	v_cmp_lt_i32_e64 s29, -1, v11
	v_or_b32_e32 v11, v14, v10
	v_or_b32_e32 v14, v19, v10
	v_mul_lo_u32 v13, v13, s59
	v_cmp_lt_i32_e64 s21, -1, v18
	v_or_b32_e32 v18, v15, v8
	v_cmp_lt_i32_e64 s30, -1, v11
	v_or_b32_e32 v11, v15, v10
	v_or_b32_e32 v15, v20, v10
	v_cmp_lt_i32_e64 s39, -1, v14
	v_cmp_lt_i32_e64 s19, -1, v18
	v_or_b32_e32 v18, v16, v8
	v_cmp_lt_i32_e64 s31, -1, v11
	v_cmp_lt_i32_e64 s38, -1, v15
	v_add_nc_u32_e32 v22, v0, v13
	s_and_b32 s18, s82, s16
	v_cmp_lt_i32_e64 s20, -1, v18
	v_or_b32_e32 v18, v17, v8
	v_or_b32_e32 v17, v17, v10
	v_ashrrev_i32_e32 v23, 31, v22
	s_and_b32 s21, s93, s21
	s_and_b32 s27, s5, s4
	v_cmp_lt_i32_e64 s23, -1, v18
	v_or_b32_e32 v18, v19, v8
	v_mul_lo_u32 v19, v10, s58
	v_cmp_lt_i32_e64 s41, -1, v17
	s_and_b32 s44, s18, s33
	s_and_b32 s18, s92, s17
	v_cmp_lt_i32_e64 s22, -1, v18
	v_or_b32_e32 v18, v20, v8
	v_mul_lo_u32 v8, v8, s58
	v_add_nc_u32_e32 v20, v1, v13
	s_and_b32 s83, s21, s33
	s_and_b32 s21, s94, s19
	v_cmp_lt_i32_e64 s25, -1, v18
	v_or_b32_e32 v18, v16, v10
	v_add_nc_u32_e32 v16, v6, v9
	v_ashrrev_i32_e32 v21, 31, v20
	v_add_nc_u32_e32 v11, v6, v8
	v_add_nc_u32_e32 v10, v5, v8
	;; [unrolled: 1-line block ×6, first 2 shown]
	v_mul_lo_u32 v7, v16, s59
	v_cmp_lt_i32_e64 s40, -1, v18
	v_mul_lo_u32 v11, v11, s59
	v_mul_lo_u32 v9, v9, s59
	;; [unrolled: 1-line block ×4, first 2 shown]
	s_and_b32 s24, s81, s24
	s_and_b32 s34, s15, s34
	v_add_nc_u32_e32 v14, v1, v7
	v_add_nc_u32_e32 v16, v0, v7
	v_add_nc_u32_e32 v18, v4, v7
	v_mul_lo_u32 v7, v12, s59
	v_add_nc_u32_e32 v12, v4, v13
	v_ashrrev_i32_e32 v15, 31, v14
	v_ashrrev_i32_e32 v17, 31, v16
	;; [unrolled: 1-line block ×3, first 2 shown]
	v_add_nc_u32_e32 v30, v1, v11
	v_ashrrev_i32_e32 v13, 31, v12
	v_lshlrev_b64 v[14:15], 3, v[14:15]
	buffer_store_dword v14, off, s[100:103], 0 offset:8 ; 4-byte Folded Spill
	buffer_store_dword v15, off, s[100:103], 0 offset:12 ; 4-byte Folded Spill
	v_lshlrev_b64 v[14:15], 3, v[16:17]
	buffer_store_dword v14, off, s[100:103], 0 offset:16 ; 4-byte Folded Spill
	buffer_store_dword v15, off, s[100:103], 0 offset:20 ; 4-byte Folded Spill
	;; [unrolled: 3-line block ×3, first 2 shown]
	v_lshlrev_b64 v[14:15], 3, v[20:21]
	v_add_nc_u32_e32 v24, v1, v7
	buffer_store_dword v14, off, s[100:103], 0 offset:32 ; 4-byte Folded Spill
	buffer_store_dword v15, off, s[100:103], 0 offset:36 ; 4-byte Folded Spill
	v_lshlrev_b64 v[14:15], 3, v[22:23]
	v_lshlrev_b64 v[12:13], 3, v[12:13]
	v_ashrrev_i32_e32 v25, 31, v24
	v_add_nc_u32_e32 v26, v0, v7
	buffer_store_dword v14, off, s[100:103], 0 offset:40 ; 4-byte Folded Spill
	buffer_store_dword v15, off, s[100:103], 0 offset:44 ; 4-byte Folded Spill
	;; [unrolled: 1-line block ×4, first 2 shown]
	v_lshlrev_b64 v[12:13], 3, v[24:25]
	v_ashrrev_i32_e32 v27, 31, v26
	v_add_nc_u32_e32 v28, v4, v7
	buffer_store_dword v12, off, s[100:103], 0 offset:56 ; 4-byte Folded Spill
	buffer_store_dword v13, off, s[100:103], 0 offset:60 ; 4-byte Folded Spill
	v_lshlrev_b64 v[12:13], 3, v[26:27]
	v_ashrrev_i32_e32 v29, 31, v28
	v_mul_lo_u32 v7, v10, s59
	buffer_store_dword v12, off, s[100:103], 0 offset:64 ; 4-byte Folded Spill
	buffer_store_dword v13, off, s[100:103], 0 offset:68 ; 4-byte Folded Spill
	v_lshlrev_b64 v[12:13], 3, v[28:29]
	v_ashrrev_i32_e32 v31, 31, v30
	v_add_nc_u32_e32 v32, v0, v11
	v_add_nc_u32_e32 v10, v4, v11
	v_add_nc_u32_e32 v34, v1, v7
	v_add_nc_u32_e32 v36, v0, v7
	v_add_nc_u32_e32 v38, v4, v7
	v_add_nc_u32_e32 v40, v1, v9
	v_add_nc_u32_e32 v42, v0, v9
	v_add_nc_u32_e32 v7, v4, v9
	v_mul_lo_u32 v9, v5, s59
	buffer_store_dword v12, off, s[100:103], 0 offset:72 ; 4-byte Folded Spill
	buffer_store_dword v13, off, s[100:103], 0 offset:76 ; 4-byte Folded Spill
	v_lshlrev_b64 v[12:13], 3, v[30:31]
	v_ashrrev_i32_e32 v33, 31, v32
	v_ashrrev_i32_e32 v11, 31, v10
	buffer_store_dword v12, off, s[100:103], 0 offset:80 ; 4-byte Folded Spill
	buffer_store_dword v13, off, s[100:103], 0 offset:84 ; 4-byte Folded Spill
	v_add_nc_u32_e32 v46, v0, v48
	v_add_nc_u32_e32 v52, v0, v6
	;; [unrolled: 1-line block ×5, first 2 shown]
	v_lshlrev_b64 v[12:13], 3, v[32:33]
	v_lshlrev_b64 v[9:10], 3, v[10:11]
	v_ashrrev_i32_e32 v35, 31, v34
	buffer_store_dword v12, off, s[100:103], 0 offset:88 ; 4-byte Folded Spill
	buffer_store_dword v13, off, s[100:103], 0 offset:92 ; 4-byte Folded Spill
	;; [unrolled: 1-line block ×4, first 2 shown]
	v_lshlrev_b64 v[9:10], 3, v[34:35]
	v_ashrrev_i32_e32 v37, 31, v36
	buffer_store_dword v9, off, s[100:103], 0 offset:104 ; 4-byte Folded Spill
	buffer_store_dword v10, off, s[100:103], 0 offset:108 ; 4-byte Folded Spill
	v_lshlrev_b64 v[9:10], 3, v[36:37]
	v_ashrrev_i32_e32 v39, 31, v38
	buffer_store_dword v9, off, s[100:103], 0 offset:112 ; 4-byte Folded Spill
	buffer_store_dword v10, off, s[100:103], 0 offset:116 ; 4-byte Folded Spill
	;; [unrolled: 4-line block ×3, first 2 shown]
	v_lshlrev_b64 v[9:10], 3, v[40:41]
	v_ashrrev_i32_e32 v43, 31, v42
	v_ashrrev_i32_e32 v8, 31, v7
	v_add_nc_u32_e32 v44, v1, v48
	buffer_store_dword v9, off, s[100:103], 0 offset:128 ; 4-byte Folded Spill
	buffer_store_dword v10, off, s[100:103], 0 offset:132 ; 4-byte Folded Spill
	v_lshlrev_b64 v[9:10], 3, v[42:43]
	v_lshlrev_b64 v[7:8], 3, v[7:8]
	v_ashrrev_i32_e32 v45, 31, v44
	buffer_store_dword v9, off, s[100:103], 0 offset:136 ; 4-byte Folded Spill
	buffer_store_dword v10, off, s[100:103], 0 offset:140 ; 4-byte Folded Spill
	;; [unrolled: 1-line block ×4, first 2 shown]
	v_lshlrev_b64 v[7:8], 3, v[44:45]
	v_ashrrev_i32_e32 v47, 31, v46
	v_add_nc_u32_e32 v48, v4, v48
	buffer_store_dword v7, off, s[100:103], 0 offset:152 ; 4-byte Folded Spill
	buffer_store_dword v8, off, s[100:103], 0 offset:156 ; 4-byte Folded Spill
	v_lshlrev_b64 v[7:8], 3, v[46:47]
	v_ashrrev_i32_e32 v49, 31, v48
	v_add_nc_u32_e32 v50, v1, v6
	buffer_store_dword v7, off, s[100:103], 0 offset:160 ; 4-byte Folded Spill
	buffer_store_dword v8, off, s[100:103], 0 offset:164 ; 4-byte Folded Spill
	v_lshlrev_b64 v[7:8], 3, v[48:49]
	v_ashrrev_i32_e32 v51, 31, v50
	s_and_b32 s15, s56, s1
	s_and_b32 s16, s27, s0
	s_and_b32 s17, s27, vcc_lo
	s_and_b32 s56, s18, s33
	s_and_b32 s18, s27, s1
	;; [unrolled: 1-line block ×9, first 2 shown]
	v_add_nc_u32_e32 v5, v4, v6
	buffer_store_dword v7, off, s[100:103], 0 offset:168 ; 4-byte Folded Spill
	buffer_store_dword v8, off, s[100:103], 0 offset:172 ; 4-byte Folded Spill
	s_and_b32 s19, s27, s0
	s_and_b32 s20, s27, vcc_lo
	s_and_b32 s85, s21, s33
	s_and_b32 s21, s27, s1
	s_and_b32 s27, s5, s3
	s_and_b32 s79, s23, s33
	s_and_b32 s22, s68, s22
	s_and_b32 s23, s69, s25
	s_and_b32 s29, s26, s28
	s_and_b32 s26, s93, s30
	v_lshlrev_b64 v[7:8], 3, v[50:51]
	s_and_b32 s5, s27, s0
	s_and_b32 s77, s22, s33
	s_and_b32 s22, s27, vcc_lo
	s_and_b32 s33, s23, s33
	s_and_b32 s23, s27, s1
	;; [unrolled: 1-line block ×7, first 2 shown]
	v_ashrrev_i32_e32 v53, 31, v52
	v_ashrrev_i32_e32 v6, 31, v5
	;; [unrolled: 1-line block ×5, first 2 shown]
	s_and_b32 s4, s25, s0
	s_and_b32 s82, s24, s28
	s_and_b32 s24, s25, vcc_lo
	s_and_b32 s25, s25, s1
	s_and_b32 s2, s27, s0
	;; [unrolled: 1-line block ×3, first 2 shown]
	s_and_b32 s26, s27, vcc_lo
	s_and_b32 s27, s27, s1
	s_and_b32 s0, s3, s0
	s_and_b32 vcc_lo, s3, vcc_lo
	s_and_b32 s1, s3, s1
	s_mul_i32 s3, s71, s80
	buffer_store_dword v7, off, s[100:103], 0 offset:176 ; 4-byte Folded Spill
	buffer_store_dword v8, off, s[100:103], 0 offset:180 ; 4-byte Folded Spill
	;; [unrolled: 1-line block ×3, first 2 shown]
	v_mul_lo_u32 v58, s3, v58
	v_lshlrev_b64 v[48:49], 3, v[52:53]
	v_lshlrev_b64 v[50:51], 3, v[5:6]
	;; [unrolled: 1-line block ×5, first 2 shown]
	v_add_nc_u32_e32 v46, s80, v126
	s_and_b32 s40, s66, s40
	s_and_b32 s41, s67, s41
	;; [unrolled: 1-line block ×6, first 2 shown]
	s_mov_b32 s41, 0
	s_and_b32 s39, s39, s28
	s_and_b32 s28, s38, s28
	s_branch .LBB15_7
.LBB15_6:                               ;   in Loop: Header=BB15_7 Depth=2
	s_or_b32 exec_lo, exec_lo, s38
	s_waitcnt vmcnt(26)
	v_fma_f64 v[62:63], v[62:63], v[64:65], v[60:61]
	v_add_nc_u32_e32 v126, 1, v126
	v_add_co_u32 v2, s3, 0xd8, v2
	v_add_co_ci_u32_e64 v3, null, 0, v3, s3
	v_cmp_ge_i32_e64 s3, v126, v46
	v_add_nc_u32_e32 v58, s71, v58
	s_or_b32 s41, s3, s41
	v_cndmask_b32_e64 v61, v61, v63, s6
	v_cndmask_b32_e64 v60, v60, v62, s6
	s_waitcnt vmcnt(25)
	v_fma_f64 v[62:63], v[66:67], v[70:71], v[60:61]
	v_cndmask_b32_e64 v61, v61, v63, s7
	v_cndmask_b32_e64 v60, v60, v62, s7
	s_waitcnt vmcnt(24)
	v_fma_f64 v[62:63], v[72:73], v[68:69], v[60:61]
	;; [unrolled: 4-line block ×25, first 2 shown]
	v_cndmask_b32_e32 v1, v1, v5, vcc_lo
	v_cndmask_b32_e32 v0, v0, v4, vcc_lo
	s_waitcnt vmcnt(0)
	v_fma_f64 v[4:5], v[44:45], v[40:41], v[0:1]
	v_cndmask_b32_e64 v61, v1, v5, s1
	v_cndmask_b32_e64 v60, v0, v4, s1
	s_andn2_b32 exec_lo, exec_lo, s41
	s_cbranch_execz .LBB15_2
.LBB15_7:                               ;   Parent Loop BB15_4 Depth=1
                                        ; =>  This Inner Loop Header: Depth=2
	buffer_load_dword v4, off, s[100:103], 0 ; 4-byte Folded Reload
	v_ashrrev_i32_e32 v59, 31, v58
	global_load_dwordx2 v[62:63], v[2:3], off
	v_mov_b32_e32 v64, 0
	v_mov_b32_e32 v65, 0
	v_lshlrev_b64 v[0:1], 3, v[58:59]
	s_waitcnt vmcnt(1)
	v_add_co_u32 v47, s3, v4, v0
	buffer_load_dword v0, off, s[100:103], 0 offset:4 ; 4-byte Folded Reload
	s_waitcnt vmcnt(0)
	v_add_co_ci_u32_e64 v59, null, v0, v1, s3
	s_and_saveexec_b32 s38, s98
	s_cbranch_execz .LBB15_9
; %bb.8:                                ;   in Loop: Header=BB15_7 Depth=2
	s_clause 0x1
	buffer_load_dword v0, off, s[100:103], 0 offset:8
	buffer_load_dword v1, off, s[100:103], 0 offset:12
	s_waitcnt vmcnt(1)
	v_add_co_u32 v0, s3, v47, v0
	s_waitcnt vmcnt(0)
	v_add_co_ci_u32_e64 v1, null, v59, v1, s3
	global_load_dwordx2 v[64:65], v[0:1], off
.LBB15_9:                               ;   in Loop: Header=BB15_7 Depth=2
	s_or_b32 exec_lo, exec_lo, s38
	global_load_dwordx2 v[66:67], v[2:3], off offset:8
	v_mov_b32_e32 v68, 0
	v_mov_b32_e32 v70, 0
	v_mov_b32_e32 v69, 0
	v_mov_b32_e32 v71, 0
	s_and_saveexec_b32 s38, s99
	s_cbranch_execz .LBB15_11
; %bb.10:                               ;   in Loop: Header=BB15_7 Depth=2
	s_clause 0x1
	buffer_load_dword v0, off, s[100:103], 0 offset:16
	buffer_load_dword v1, off, s[100:103], 0 offset:20
	s_waitcnt vmcnt(1)
	v_add_co_u32 v0, s3, v47, v0
	s_waitcnt vmcnt(0)
	v_add_co_ci_u32_e64 v1, null, v59, v1, s3
	global_load_dwordx2 v[70:71], v[0:1], off
.LBB15_11:                              ;   in Loop: Header=BB15_7 Depth=2
	s_or_b32 exec_lo, exec_lo, s38
	global_load_dwordx2 v[72:73], v[2:3], off offset:16
	s_and_saveexec_b32 s38, s37
	s_cbranch_execz .LBB15_13
; %bb.12:                               ;   in Loop: Header=BB15_7 Depth=2
	s_clause 0x1
	buffer_load_dword v0, off, s[100:103], 0 offset:24
	buffer_load_dword v1, off, s[100:103], 0 offset:28
	s_waitcnt vmcnt(1)
	v_add_co_u32 v0, s3, v47, v0
	s_waitcnt vmcnt(0)
	v_add_co_ci_u32_e64 v1, null, v59, v1, s3
	global_load_dwordx2 v[68:69], v[0:1], off
.LBB15_13:                              ;   in Loop: Header=BB15_7 Depth=2
	s_or_b32 exec_lo, exec_lo, s38
	global_load_dwordx2 v[74:75], v[2:3], off offset:24
	v_mov_b32_e32 v76, 0
	v_mov_b32_e32 v78, 0
	v_mov_b32_e32 v77, 0
	v_mov_b32_e32 v79, 0
	s_and_saveexec_b32 s38, s104
	s_cbranch_execz .LBB15_15
; %bb.14:                               ;   in Loop: Header=BB15_7 Depth=2
	s_clause 0x1
	buffer_load_dword v0, off, s[100:103], 0 offset:32
	buffer_load_dword v1, off, s[100:103], 0 offset:36
	s_waitcnt vmcnt(1)
	v_add_co_u32 v0, s3, v47, v0
	s_waitcnt vmcnt(0)
	v_add_co_ci_u32_e64 v1, null, v59, v1, s3
	global_load_dwordx2 v[78:79], v[0:1], off
.LBB15_15:                              ;   in Loop: Header=BB15_7 Depth=2
	s_or_b32 exec_lo, exec_lo, s38
	global_load_dwordx2 v[80:81], v[2:3], off offset:32
	s_and_saveexec_b32 s38, vcc_hi
	s_cbranch_execz .LBB15_17
; %bb.16:                               ;   in Loop: Header=BB15_7 Depth=2
	s_clause 0x1
	buffer_load_dword v0, off, s[100:103], 0 offset:40
	buffer_load_dword v1, off, s[100:103], 0 offset:44
	s_waitcnt vmcnt(1)
	v_add_co_u32 v0, s3, v47, v0
	s_waitcnt vmcnt(0)
	v_add_co_ci_u32_e64 v1, null, v59, v1, s3
	global_load_dwordx2 v[76:77], v[0:1], off
.LBB15_17:                              ;   in Loop: Header=BB15_7 Depth=2
	s_or_b32 exec_lo, exec_lo, s38
	global_load_dwordx2 v[82:83], v[2:3], off offset:40
	v_mov_b32_e32 v84, 0
	v_mov_b32_e32 v86, 0
	v_mov_b32_e32 v85, 0
	v_mov_b32_e32 v87, 0
	s_and_saveexec_b32 s38, s36
	s_cbranch_execz .LBB15_19
; %bb.18:                               ;   in Loop: Header=BB15_7 Depth=2
	s_clause 0x1
	buffer_load_dword v0, off, s[100:103], 0 offset:48
	buffer_load_dword v1, off, s[100:103], 0 offset:52
	s_waitcnt vmcnt(1)
	v_add_co_u32 v0, s3, v47, v0
	s_waitcnt vmcnt(0)
	v_add_co_ci_u32_e64 v1, null, v59, v1, s3
	global_load_dwordx2 v[86:87], v[0:1], off
.LBB15_19:                              ;   in Loop: Header=BB15_7 Depth=2
	s_or_b32 exec_lo, exec_lo, s38
	global_load_dwordx2 v[88:89], v[2:3], off offset:48
	s_and_saveexec_b32 s38, s42
	s_cbranch_execz .LBB15_21
; %bb.20:                               ;   in Loop: Header=BB15_7 Depth=2
	s_clause 0x1
	buffer_load_dword v0, off, s[100:103], 0 offset:56
	buffer_load_dword v1, off, s[100:103], 0 offset:60
	s_waitcnt vmcnt(1)
	v_add_co_u32 v0, s3, v47, v0
	s_waitcnt vmcnt(0)
	v_add_co_ci_u32_e64 v1, null, v59, v1, s3
	global_load_dwordx2 v[84:85], v[0:1], off
.LBB15_21:                              ;   in Loop: Header=BB15_7 Depth=2
	s_or_b32 exec_lo, exec_lo, s38
	global_load_dwordx2 v[90:91], v[2:3], off offset:56
	v_mov_b32_e32 v92, 0
	v_mov_b32_e32 v94, 0
	v_mov_b32_e32 v93, 0
	v_mov_b32_e32 v95, 0
	s_and_saveexec_b32 s38, s43
	s_cbranch_execz .LBB15_23
; %bb.22:                               ;   in Loop: Header=BB15_7 Depth=2
	s_clause 0x1
	buffer_load_dword v0, off, s[100:103], 0 offset:64
	buffer_load_dword v1, off, s[100:103], 0 offset:68
	s_waitcnt vmcnt(1)
	v_add_co_u32 v0, s3, v47, v0
	s_waitcnt vmcnt(0)
	v_add_co_ci_u32_e64 v1, null, v59, v1, s3
	global_load_dwordx2 v[94:95], v[0:1], off
.LBB15_23:                              ;   in Loop: Header=BB15_7 Depth=2
	s_or_b32 exec_lo, exec_lo, s38
	global_load_dwordx2 v[96:97], v[2:3], off offset:64
	s_and_saveexec_b32 s38, s34
	;; [unrolled: 32-line block ×9, first 2 shown]
	s_cbranch_execz .LBB15_53
; %bb.52:                               ;   in Loop: Header=BB15_7 Depth=2
	v_add_co_u32 v24, s3, v47, v48
	v_add_co_ci_u32_e64 v25, null, v59, v49, s3
	global_load_dwordx2 v[24:25], v[24:25], off
.LBB15_53:                              ;   in Loop: Header=BB15_7 Depth=2
	s_or_b32 exec_lo, exec_lo, s38
	global_load_dwordx2 v[30:31], v[2:3], off offset:184
	v_mov_b32_e32 v32, 0
	v_mov_b32_e32 v34, 0
	;; [unrolled: 1-line block ×4, first 2 shown]
	s_and_saveexec_b32 s38, s40
	s_cbranch_execz .LBB15_55
; %bb.54:                               ;   in Loop: Header=BB15_7 Depth=2
	v_add_co_u32 v34, s3, v47, v50
	v_add_co_ci_u32_e64 v35, null, v59, v51, s3
	global_load_dwordx2 v[34:35], v[34:35], off
.LBB15_55:                              ;   in Loop: Header=BB15_7 Depth=2
	s_or_b32 exec_lo, exec_lo, s38
	global_load_dwordx2 v[36:37], v[2:3], off offset:192
	s_and_saveexec_b32 s38, s8
	s_cbranch_execz .LBB15_57
; %bb.56:                               ;   in Loop: Header=BB15_7 Depth=2
	v_add_co_u32 v32, s3, v47, v52
	v_add_co_ci_u32_e64 v33, null, v59, v53, s3
	global_load_dwordx2 v[32:33], v[32:33], off
.LBB15_57:                              ;   in Loop: Header=BB15_7 Depth=2
	s_or_b32 exec_lo, exec_lo, s38
	global_load_dwordx2 v[38:39], v[2:3], off offset:200
	v_mov_b32_e32 v40, 0
	v_mov_b32_e32 v42, 0
	;; [unrolled: 1-line block ×4, first 2 shown]
	s_and_saveexec_b32 s38, s39
	s_cbranch_execz .LBB15_59
; %bb.58:                               ;   in Loop: Header=BB15_7 Depth=2
	v_add_co_u32 v42, s3, v47, v54
	v_add_co_ci_u32_e64 v43, null, v59, v55, s3
	global_load_dwordx2 v[42:43], v[42:43], off
.LBB15_59:                              ;   in Loop: Header=BB15_7 Depth=2
	s_or_b32 exec_lo, exec_lo, s38
	global_load_dwordx2 v[44:45], v[2:3], off offset:208
	s_and_saveexec_b32 s38, s28
	s_cbranch_execz .LBB15_6
; %bb.60:                               ;   in Loop: Header=BB15_7 Depth=2
	v_add_co_u32 v40, s3, v47, v56
	v_add_co_ci_u32_e64 v41, null, v59, v57, s3
	global_load_dwordx2 v[40:41], v[40:41], off
	s_branch .LBB15_6
.LBB15_61:                              ;   in Loop: Header=BB15_4 Depth=1
	v_mov_b32_e32 v60, 0
	v_mov_b32_e32 v61, 0
	s_branch .LBB15_3
.LBB15_62:
	s_endpgm
	.section	.rodata,"a",@progbits
	.p2align	6, 0x0
	.amdhsa_kernel _ZN2at6native12_GLOBAL__N_143conv_depthwise3d_cuda_backward_input_kernelIddLi3ELi3ELi3ELin1ELin1ELin1ELin1ELin1ELin1EEEvN5torch10headeronly6detail27GenericPackedTensorAccessorINS5_14TensorAccessorIN3c108ArrayRefIlEEKT_Lm4ENS4_16DefaultPtrTraitsEiEENS_6detail16IndexBoundsCheckILm5EiEESC_Lm5ESD_iEENS6_INS7_ISA_SB_Lm4ESD_iEESH_SB_Lm5ESD_iEESI_iiiiiiiii
		.amdhsa_group_segment_fixed_size 0
		.amdhsa_private_segment_fixed_size 244
		.amdhsa_kernarg_size 440
		.amdhsa_user_sgpr_count 6
		.amdhsa_user_sgpr_private_segment_buffer 1
		.amdhsa_user_sgpr_dispatch_ptr 0
		.amdhsa_user_sgpr_queue_ptr 0
		.amdhsa_user_sgpr_kernarg_segment_ptr 1
		.amdhsa_user_sgpr_dispatch_id 0
		.amdhsa_user_sgpr_flat_scratch_init 0
		.amdhsa_user_sgpr_private_segment_size 0
		.amdhsa_wavefront_size32 1
		.amdhsa_uses_dynamic_stack 0
		.amdhsa_system_sgpr_private_segment_wavefront_offset 1
		.amdhsa_system_sgpr_workgroup_id_x 1
		.amdhsa_system_sgpr_workgroup_id_y 0
		.amdhsa_system_sgpr_workgroup_id_z 0
		.amdhsa_system_sgpr_workgroup_info 0
		.amdhsa_system_vgpr_workitem_id 0
		.amdhsa_next_free_vgpr 128
		.amdhsa_next_free_sgpr 105
		.amdhsa_reserve_vcc 1
		.amdhsa_reserve_flat_scratch 0
		.amdhsa_float_round_mode_32 0
		.amdhsa_float_round_mode_16_64 0
		.amdhsa_float_denorm_mode_32 3
		.amdhsa_float_denorm_mode_16_64 3
		.amdhsa_dx10_clamp 1
		.amdhsa_ieee_mode 1
		.amdhsa_fp16_overflow 0
		.amdhsa_workgroup_processor_mode 1
		.amdhsa_memory_ordered 1
		.amdhsa_forward_progress 1
		.amdhsa_shared_vgpr_count 0
		.amdhsa_exception_fp_ieee_invalid_op 0
		.amdhsa_exception_fp_denorm_src 0
		.amdhsa_exception_fp_ieee_div_zero 0
		.amdhsa_exception_fp_ieee_overflow 0
		.amdhsa_exception_fp_ieee_underflow 0
		.amdhsa_exception_fp_ieee_inexact 0
		.amdhsa_exception_int_div_zero 0
	.end_amdhsa_kernel
	.section	.text._ZN2at6native12_GLOBAL__N_143conv_depthwise3d_cuda_backward_input_kernelIddLi3ELi3ELi3ELin1ELin1ELin1ELin1ELin1ELin1EEEvN5torch10headeronly6detail27GenericPackedTensorAccessorINS5_14TensorAccessorIN3c108ArrayRefIlEEKT_Lm4ENS4_16DefaultPtrTraitsEiEENS_6detail16IndexBoundsCheckILm5EiEESC_Lm5ESD_iEENS6_INS7_ISA_SB_Lm4ESD_iEESH_SB_Lm5ESD_iEESI_iiiiiiiii,"axG",@progbits,_ZN2at6native12_GLOBAL__N_143conv_depthwise3d_cuda_backward_input_kernelIddLi3ELi3ELi3ELin1ELin1ELin1ELin1ELin1ELin1EEEvN5torch10headeronly6detail27GenericPackedTensorAccessorINS5_14TensorAccessorIN3c108ArrayRefIlEEKT_Lm4ENS4_16DefaultPtrTraitsEiEENS_6detail16IndexBoundsCheckILm5EiEESC_Lm5ESD_iEENS6_INS7_ISA_SB_Lm4ESD_iEESH_SB_Lm5ESD_iEESI_iiiiiiiii,comdat
.Lfunc_end15:
	.size	_ZN2at6native12_GLOBAL__N_143conv_depthwise3d_cuda_backward_input_kernelIddLi3ELi3ELi3ELin1ELin1ELin1ELin1ELin1ELin1EEEvN5torch10headeronly6detail27GenericPackedTensorAccessorINS5_14TensorAccessorIN3c108ArrayRefIlEEKT_Lm4ENS4_16DefaultPtrTraitsEiEENS_6detail16IndexBoundsCheckILm5EiEESC_Lm5ESD_iEENS6_INS7_ISA_SB_Lm4ESD_iEESH_SB_Lm5ESD_iEESI_iiiiiiiii, .Lfunc_end15-_ZN2at6native12_GLOBAL__N_143conv_depthwise3d_cuda_backward_input_kernelIddLi3ELi3ELi3ELin1ELin1ELin1ELin1ELin1ELin1EEEvN5torch10headeronly6detail27GenericPackedTensorAccessorINS5_14TensorAccessorIN3c108ArrayRefIlEEKT_Lm4ENS4_16DefaultPtrTraitsEiEENS_6detail16IndexBoundsCheckILm5EiEESC_Lm5ESD_iEENS6_INS7_ISA_SB_Lm4ESD_iEESH_SB_Lm5ESD_iEESI_iiiiiiiii
                                        ; -- End function
	.set _ZN2at6native12_GLOBAL__N_143conv_depthwise3d_cuda_backward_input_kernelIddLi3ELi3ELi3ELin1ELin1ELin1ELin1ELin1ELin1EEEvN5torch10headeronly6detail27GenericPackedTensorAccessorINS5_14TensorAccessorIN3c108ArrayRefIlEEKT_Lm4ENS4_16DefaultPtrTraitsEiEENS_6detail16IndexBoundsCheckILm5EiEESC_Lm5ESD_iEENS6_INS7_ISA_SB_Lm4ESD_iEESH_SB_Lm5ESD_iEESI_iiiiiiiii.num_vgpr, 128
	.set _ZN2at6native12_GLOBAL__N_143conv_depthwise3d_cuda_backward_input_kernelIddLi3ELi3ELi3ELin1ELin1ELin1ELin1ELin1ELin1EEEvN5torch10headeronly6detail27GenericPackedTensorAccessorINS5_14TensorAccessorIN3c108ArrayRefIlEEKT_Lm4ENS4_16DefaultPtrTraitsEiEENS_6detail16IndexBoundsCheckILm5EiEESC_Lm5ESD_iEENS6_INS7_ISA_SB_Lm4ESD_iEESH_SB_Lm5ESD_iEESI_iiiiiiiii.num_agpr, 0
	.set _ZN2at6native12_GLOBAL__N_143conv_depthwise3d_cuda_backward_input_kernelIddLi3ELi3ELi3ELin1ELin1ELin1ELin1ELin1ELin1EEEvN5torch10headeronly6detail27GenericPackedTensorAccessorINS5_14TensorAccessorIN3c108ArrayRefIlEEKT_Lm4ENS4_16DefaultPtrTraitsEiEENS_6detail16IndexBoundsCheckILm5EiEESC_Lm5ESD_iEENS6_INS7_ISA_SB_Lm4ESD_iEESH_SB_Lm5ESD_iEESI_iiiiiiiii.numbered_sgpr, 105
	.set _ZN2at6native12_GLOBAL__N_143conv_depthwise3d_cuda_backward_input_kernelIddLi3ELi3ELi3ELin1ELin1ELin1ELin1ELin1ELin1EEEvN5torch10headeronly6detail27GenericPackedTensorAccessorINS5_14TensorAccessorIN3c108ArrayRefIlEEKT_Lm4ENS4_16DefaultPtrTraitsEiEENS_6detail16IndexBoundsCheckILm5EiEESC_Lm5ESD_iEENS6_INS7_ISA_SB_Lm4ESD_iEESH_SB_Lm5ESD_iEESI_iiiiiiiii.num_named_barrier, 0
	.set _ZN2at6native12_GLOBAL__N_143conv_depthwise3d_cuda_backward_input_kernelIddLi3ELi3ELi3ELin1ELin1ELin1ELin1ELin1ELin1EEEvN5torch10headeronly6detail27GenericPackedTensorAccessorINS5_14TensorAccessorIN3c108ArrayRefIlEEKT_Lm4ENS4_16DefaultPtrTraitsEiEENS_6detail16IndexBoundsCheckILm5EiEESC_Lm5ESD_iEENS6_INS7_ISA_SB_Lm4ESD_iEESH_SB_Lm5ESD_iEESI_iiiiiiiii.private_seg_size, 244
	.set _ZN2at6native12_GLOBAL__N_143conv_depthwise3d_cuda_backward_input_kernelIddLi3ELi3ELi3ELin1ELin1ELin1ELin1ELin1ELin1EEEvN5torch10headeronly6detail27GenericPackedTensorAccessorINS5_14TensorAccessorIN3c108ArrayRefIlEEKT_Lm4ENS4_16DefaultPtrTraitsEiEENS_6detail16IndexBoundsCheckILm5EiEESC_Lm5ESD_iEENS6_INS7_ISA_SB_Lm4ESD_iEESH_SB_Lm5ESD_iEESI_iiiiiiiii.uses_vcc, 1
	.set _ZN2at6native12_GLOBAL__N_143conv_depthwise3d_cuda_backward_input_kernelIddLi3ELi3ELi3ELin1ELin1ELin1ELin1ELin1ELin1EEEvN5torch10headeronly6detail27GenericPackedTensorAccessorINS5_14TensorAccessorIN3c108ArrayRefIlEEKT_Lm4ENS4_16DefaultPtrTraitsEiEENS_6detail16IndexBoundsCheckILm5EiEESC_Lm5ESD_iEENS6_INS7_ISA_SB_Lm4ESD_iEESH_SB_Lm5ESD_iEESI_iiiiiiiii.uses_flat_scratch, 0
	.set _ZN2at6native12_GLOBAL__N_143conv_depthwise3d_cuda_backward_input_kernelIddLi3ELi3ELi3ELin1ELin1ELin1ELin1ELin1ELin1EEEvN5torch10headeronly6detail27GenericPackedTensorAccessorINS5_14TensorAccessorIN3c108ArrayRefIlEEKT_Lm4ENS4_16DefaultPtrTraitsEiEENS_6detail16IndexBoundsCheckILm5EiEESC_Lm5ESD_iEENS6_INS7_ISA_SB_Lm4ESD_iEESH_SB_Lm5ESD_iEESI_iiiiiiiii.has_dyn_sized_stack, 0
	.set _ZN2at6native12_GLOBAL__N_143conv_depthwise3d_cuda_backward_input_kernelIddLi3ELi3ELi3ELin1ELin1ELin1ELin1ELin1ELin1EEEvN5torch10headeronly6detail27GenericPackedTensorAccessorINS5_14TensorAccessorIN3c108ArrayRefIlEEKT_Lm4ENS4_16DefaultPtrTraitsEiEENS_6detail16IndexBoundsCheckILm5EiEESC_Lm5ESD_iEENS6_INS7_ISA_SB_Lm4ESD_iEESH_SB_Lm5ESD_iEESI_iiiiiiiii.has_recursion, 0
	.set _ZN2at6native12_GLOBAL__N_143conv_depthwise3d_cuda_backward_input_kernelIddLi3ELi3ELi3ELin1ELin1ELin1ELin1ELin1ELin1EEEvN5torch10headeronly6detail27GenericPackedTensorAccessorINS5_14TensorAccessorIN3c108ArrayRefIlEEKT_Lm4ENS4_16DefaultPtrTraitsEiEENS_6detail16IndexBoundsCheckILm5EiEESC_Lm5ESD_iEENS6_INS7_ISA_SB_Lm4ESD_iEESH_SB_Lm5ESD_iEESI_iiiiiiiii.has_indirect_call, 0
	.section	.AMDGPU.csdata,"",@progbits
; Kernel info:
; codeLenInByte = 7540
; TotalNumSgprs: 107
; NumVgprs: 128
; ScratchSize: 244
; MemoryBound: 0
; FloatMode: 240
; IeeeMode: 1
; LDSByteSize: 0 bytes/workgroup (compile time only)
; SGPRBlocks: 0
; VGPRBlocks: 15
; NumSGPRsForWavesPerEU: 107
; NumVGPRsForWavesPerEU: 128
; Occupancy: 8
; WaveLimiterHint : 0
; COMPUTE_PGM_RSRC2:SCRATCH_EN: 1
; COMPUTE_PGM_RSRC2:USER_SGPR: 6
; COMPUTE_PGM_RSRC2:TRAP_HANDLER: 0
; COMPUTE_PGM_RSRC2:TGID_X_EN: 1
; COMPUTE_PGM_RSRC2:TGID_Y_EN: 0
; COMPUTE_PGM_RSRC2:TGID_Z_EN: 0
; COMPUTE_PGM_RSRC2:TIDIG_COMP_CNT: 0
	.section	.text._ZN2at6native12_GLOBAL__N_143conv_depthwise3d_cuda_backward_input_kernelIddLin1ELin1ELin1ELin1ELin1ELin1ELin1ELin1ELin1EEEvN5torch10headeronly6detail27GenericPackedTensorAccessorINS5_14TensorAccessorIN3c108ArrayRefIlEEKT_Lm4ENS4_16DefaultPtrTraitsEiEENS_6detail16IndexBoundsCheckILm5EiEESC_Lm5ESD_iEENS6_INS7_ISA_SB_Lm4ESD_iEESH_SB_Lm5ESD_iEESI_iiiiiiiii,"axG",@progbits,_ZN2at6native12_GLOBAL__N_143conv_depthwise3d_cuda_backward_input_kernelIddLin1ELin1ELin1ELin1ELin1ELin1ELin1ELin1ELin1EEEvN5torch10headeronly6detail27GenericPackedTensorAccessorINS5_14TensorAccessorIN3c108ArrayRefIlEEKT_Lm4ENS4_16DefaultPtrTraitsEiEENS_6detail16IndexBoundsCheckILm5EiEESC_Lm5ESD_iEENS6_INS7_ISA_SB_Lm4ESD_iEESH_SB_Lm5ESD_iEESI_iiiiiiiii,comdat
	.globl	_ZN2at6native12_GLOBAL__N_143conv_depthwise3d_cuda_backward_input_kernelIddLin1ELin1ELin1ELin1ELin1ELin1ELin1ELin1ELin1EEEvN5torch10headeronly6detail27GenericPackedTensorAccessorINS5_14TensorAccessorIN3c108ArrayRefIlEEKT_Lm4ENS4_16DefaultPtrTraitsEiEENS_6detail16IndexBoundsCheckILm5EiEESC_Lm5ESD_iEENS6_INS7_ISA_SB_Lm4ESD_iEESH_SB_Lm5ESD_iEESI_iiiiiiiii ; -- Begin function _ZN2at6native12_GLOBAL__N_143conv_depthwise3d_cuda_backward_input_kernelIddLin1ELin1ELin1ELin1ELin1ELin1ELin1ELin1ELin1EEEvN5torch10headeronly6detail27GenericPackedTensorAccessorINS5_14TensorAccessorIN3c108ArrayRefIlEEKT_Lm4ENS4_16DefaultPtrTraitsEiEENS_6detail16IndexBoundsCheckILm5EiEESC_Lm5ESD_iEENS6_INS7_ISA_SB_Lm4ESD_iEESH_SB_Lm5ESD_iEESI_iiiiiiiii
	.p2align	8
	.type	_ZN2at6native12_GLOBAL__N_143conv_depthwise3d_cuda_backward_input_kernelIddLin1ELin1ELin1ELin1ELin1ELin1ELin1ELin1ELin1EEEvN5torch10headeronly6detail27GenericPackedTensorAccessorINS5_14TensorAccessorIN3c108ArrayRefIlEEKT_Lm4ENS4_16DefaultPtrTraitsEiEENS_6detail16IndexBoundsCheckILm5EiEESC_Lm5ESD_iEENS6_INS7_ISA_SB_Lm4ESD_iEESH_SB_Lm5ESD_iEESI_iiiiiiiii,@function
_ZN2at6native12_GLOBAL__N_143conv_depthwise3d_cuda_backward_input_kernelIddLin1ELin1ELin1ELin1ELin1ELin1ELin1ELin1ELin1EEEvN5torch10headeronly6detail27GenericPackedTensorAccessorINS5_14TensorAccessorIN3c108ArrayRefIlEEKT_Lm4ENS4_16DefaultPtrTraitsEiEENS_6detail16IndexBoundsCheckILm5EiEESC_Lm5ESD_iEENS6_INS7_ISA_SB_Lm4ESD_iEESH_SB_Lm5ESD_iEESI_iiiiiiiii: ; @_ZN2at6native12_GLOBAL__N_143conv_depthwise3d_cuda_backward_input_kernelIddLin1ELin1ELin1ELin1ELin1ELin1ELin1ELin1ELin1EEEvN5torch10headeronly6detail27GenericPackedTensorAccessorINS5_14TensorAccessorIN3c108ArrayRefIlEEKT_Lm4ENS4_16DefaultPtrTraitsEiEENS_6detail16IndexBoundsCheckILm5EiEESC_Lm5ESD_iEENS6_INS7_ISA_SB_Lm4ESD_iEESH_SB_Lm5ESD_iEESI_iiiiiiiii
; %bb.0:
	s_clause 0x2
	s_load_dwordx4 s[16:19], s[4:5], 0x38
	s_load_dword s2, s[4:5], 0xc4
	s_load_dwordx2 s[34:35], s[4:5], 0x48
	s_mov_b32 s8, exec_lo
	s_waitcnt lgkmcnt(0)
	s_abs_i32 s33, s17
	s_add_u32 s0, s4, 0xb8
	v_cvt_f32_u32_e32 v1, s33
	s_addc_u32 s1, s5, 0
	s_and_b32 s2, s2, 0xffff
	v_rcp_iflag_f32_e32 v2, v1
	v_mov_b32_e32 v1, 0
	v_mad_u64_u32 v[0:1], null, s2, s6, v[0:1]
	s_mul_i32 s6, s35, s16
	s_ashr_i32 s7, s6, 31
	v_mul_f32_e32 v2, 0x4f7ffffe, v2
	v_cvt_u32_f32_e32 v2, v2
	v_readfirstlane_b32 s3, v2
	v_cmpx_gt_i64_e64 s[6:7], v[0:1]
	s_cbranch_execz .LBB16_19
; %bb.1:
	s_clause 0x1
	s_load_dwordx4 s[20:23], s[4:5], 0xc
	s_load_dwordx2 s[36:37], s[4:5], 0x0
	s_sub_i32 s28, 0, s33
	s_load_dwordx4 s[24:27], s[4:5], 0x70
	s_mul_i32 s8, s28, s3
	s_ashr_i32 s16, s17, 31
	s_mul_hi_u32 s8, s3, s8
	s_load_dword s0, s[0:1], 0x0
	s_add_i32 s3, s3, s8
	v_mul_lo_u32 v3, s28, v2
	s_clause 0x1
	s_load_dwordx2 s[38:39], s[4:5], 0x1c
	s_load_dwordx2 s[40:41], s[4:5], 0x30
	s_mov_b32 s44, 0
	v_mul_hi_u32 v3, v2, v3
	s_waitcnt lgkmcnt(0)
	s_abs_i32 s8, s20
	s_ashr_i32 s9, s20, 31
	s_mul_hi_u32 s3, s8, s3
	s_xor_b32 s29, s9, s16
	s_mul_i32 s10, s3, s33
	s_add_i32 s27, s3, 1
	s_sub_i32 s20, s8, s10
	s_load_dwordx8 s[8:15], s[4:5], 0x90
	s_sub_i32 s30, s20, s33
	s_cmp_ge_u32 s20, s33
	s_cselect_b32 s3, s27, s3
	s_cselect_b32 s20, s30, s20
	s_add_i32 s27, s3, 1
	s_cmp_ge_u32 s20, s33
	s_load_dword s20, s[4:5], 0xb0
	s_cselect_b32 s3, s27, s3
	s_load_dword s27, s[4:5], 0x7c
	s_xor_b32 s1, s3, s29
	s_sub_i32 s45, s1, s29
	s_cmp_gt_i32 s24, 0
	s_clause 0x1
	s_load_dwordx2 s[42:43], s[4:5], 0x60
	s_load_dwordx4 s[28:31], s[4:5], 0x50
	s_cselect_b32 s46, -1, 0
	s_cmp_gt_i32 s25, 0
	s_cselect_b32 s47, -1, 0
	s_cmp_gt_i32 s26, 0
	;; [unrolled: 2-line block ×3, first 2 shown]
	s_cselect_b32 s49, -1, 0
	s_abs_i32 s50, s34
	s_abs_i32 s51, s19
	v_cvt_f32_u32_e32 v4, s50
	s_abs_i32 s52, s18
	s_waitcnt lgkmcnt(0)
	s_abs_i32 s53, s8
	s_abs_i32 s54, s9
	;; [unrolled: 1-line block ×3, first 2 shown]
	v_rcp_iflag_f32_e32 v4, v4
	v_cvt_f32_u32_e32 v5, s51
	v_cvt_f32_u32_e32 v6, s52
	;; [unrolled: 1-line block ×5, first 2 shown]
	v_rcp_iflag_f32_e32 v5, v5
	v_rcp_iflag_f32_e32 v6, v6
	;; [unrolled: 1-line block ×5, first 2 shown]
	v_mul_f32_e32 v4, 0x4f7ffffe, v4
	s_sub_i32 s1, 0, s50
	s_sub_i32 s3, 0, s51
	;; [unrolled: 1-line block ×4, first 2 shown]
	v_cvt_u32_f32_e32 v4, v4
	v_mul_f32_e32 v5, 0x4f7ffffe, v5
	v_mul_f32_e32 v6, 0x4f7ffffe, v6
	;; [unrolled: 1-line block ×5, first 2 shown]
	v_mul_lo_u32 v10, s1, v4
	v_cvt_u32_f32_e32 v5, v5
	v_cvt_u32_f32_e32 v6, v6
	;; [unrolled: 1-line block ×5, first 2 shown]
	s_sub_i32 s56, 0, s54
	s_sub_i32 s57, 0, s55
	v_mul_lo_u32 v11, s3, v5
	v_mul_lo_u32 v12, s4, v6
	;; [unrolled: 1-line block ×4, first 2 shown]
	v_mul_hi_u32 v10, v4, v10
	v_mul_lo_u32 v15, s57, v9
	s_mul_i32 s56, s0, s2
	s_ashr_i32 s57, s34, 31
	v_mul_hi_u32 v11, v5, v11
	v_mul_hi_u32 v12, v6, v12
	;; [unrolled: 1-line block ×4, first 2 shown]
	v_add_nc_u32_e32 v10, v4, v10
	v_mul_hi_u32 v4, v9, v15
	v_add_nc_u32_e32 v13, v2, v3
	s_ashr_i32 s58, s19, 31
	v_add_nc_u32_e32 v11, v5, v11
	v_add_nc_u32_e32 v12, v6, v12
	;; [unrolled: 1-line block ×4, first 2 shown]
	s_ashr_i32 s59, s18, 31
	v_add_nc_u32_e32 v16, v9, v4
	s_ashr_i32 s60, s8, 31
	s_ashr_i32 s61, s9, 31
	;; [unrolled: 1-line block ×3, first 2 shown]
	s_branch .LBB16_4
.LBB16_2:                               ;   in Loop: Header=BB16_4 Depth=1
	s_or_b32 exec_lo, exec_lo, s63
.LBB16_3:                               ;   in Loop: Header=BB16_4 Depth=1
	v_mul_lo_u32 v4, v20, s35
	v_mul_lo_u32 v6, s28, v21
	;; [unrolled: 1-line block ×4, first 2 shown]
	v_add_co_u32 v0, vcc_lo, v0, s56
	v_mul_lo_u32 v20, s31, v17
	v_add_co_ci_u32_e64 v1, null, 0, v1, vcc_lo
	v_ashrrev_i32_e32 v5, 31, v4
	v_ashrrev_i32_e32 v7, 31, v6
	;; [unrolled: 1-line block ×4, first 2 shown]
	v_lshlrev_b64 v[4:5], 3, v[4:5]
	v_lshlrev_b64 v[6:7], 3, v[6:7]
	v_ashrrev_i32_e32 v21, 31, v20
	v_add_co_u32 v17, vcc_lo, s40, v4
	v_add_co_ci_u32_e64 v22, null, s41, v5, vcc_lo
	v_lshlrev_b64 v[4:5], 3, v[8:9]
	v_add_co_u32 v8, vcc_lo, v17, v6
	v_add_co_ci_u32_e64 v9, null, v22, v7, vcc_lo
	v_lshlrev_b64 v[6:7], 3, v[18:19]
	;; [unrolled: 3-line block ×3, first 2 shown]
	v_add_co_u32 v6, vcc_lo, v8, v6
	v_add_co_ci_u32_e64 v7, null, v9, v7, vcc_lo
	v_cmp_le_i64_e32 vcc_lo, s[6:7], v[0:1]
	v_add_co_u32 v4, s0, v6, v4
	v_add_co_ci_u32_e64 v5, null, v7, v5, s0
	s_or_b32 s44, vcc_lo, s44
	global_store_dwordx2 v[4:5], v[2:3], off
	s_andn2_b32 exec_lo, exec_lo, s44
	s_cbranch_execz .LBB16_19
.LBB16_4:                               ; =>This Loop Header: Depth=1
                                        ;     Child Loop BB16_7 Depth 2
                                        ;       Child Loop BB16_10 Depth 3
                                        ;         Child Loop BB16_13 Depth 4
                                        ;           Child Loop BB16_16 Depth 5
	v_sub_nc_u32_e32 v2, 0, v0
	v_max_i32_e32 v2, v0, v2
	v_mul_hi_u32 v3, v2, v10
	v_mul_lo_u32 v4, v3, s50
	v_sub_nc_u32_e32 v2, v2, v4
	v_add_nc_u32_e32 v4, 1, v3
	v_subrev_nc_u32_e32 v5, s50, v2
	v_cmp_le_u32_e32 vcc_lo, s50, v2
	v_cndmask_b32_e32 v3, v3, v4, vcc_lo
	v_cndmask_b32_e32 v2, v2, v5, vcc_lo
	v_ashrrev_i32_e32 v4, 31, v0
	v_add_nc_u32_e32 v5, 1, v3
	v_cmp_le_u32_e32 vcc_lo, s50, v2
	v_xor_b32_e32 v4, s57, v4
	v_cndmask_b32_e32 v2, v3, v5, vcc_lo
	v_xor_b32_e32 v2, v2, v4
	v_sub_nc_u32_e32 v2, v2, v4
	v_sub_nc_u32_e32 v3, 0, v2
	v_max_i32_e32 v3, v2, v3
	v_mul_hi_u32 v4, v3, v11
	v_mul_lo_u32 v5, v4, s51
	v_sub_nc_u32_e32 v3, v3, v5
	v_add_nc_u32_e32 v5, 1, v4
	v_subrev_nc_u32_e32 v6, s51, v3
	v_cmp_le_u32_e32 vcc_lo, s51, v3
	v_cndmask_b32_e32 v4, v4, v5, vcc_lo
	v_cndmask_b32_e32 v3, v3, v6, vcc_lo
	v_ashrrev_i32_e32 v5, 31, v2
	v_add_nc_u32_e32 v6, 1, v4
	v_cmp_le_u32_e32 vcc_lo, s51, v3
	v_xor_b32_e32 v5, s58, v5
	v_cndmask_b32_e32 v3, v4, v6, vcc_lo
	v_xor_b32_e32 v3, v3, v5
	v_sub_nc_u32_e32 v3, v3, v5
	;; [unrolled: 17-line block ×3, first 2 shown]
	v_sub_nc_u32_e32 v5, 0, v4
	v_max_i32_e32 v5, v4, v5
	v_mul_hi_u32 v6, v5, v13
	v_mul_lo_u32 v7, v6, s33
	v_sub_nc_u32_e32 v5, v5, v7
	v_add_nc_u32_e32 v7, 1, v6
	v_subrev_nc_u32_e32 v8, s33, v5
	v_cmp_le_u32_e32 vcc_lo, s33, v5
	v_cndmask_b32_e32 v6, v6, v7, vcc_lo
	v_cndmask_b32_e32 v5, v5, v8, vcc_lo
	v_ashrrev_i32_e32 v7, 31, v4
	v_add_nc_u32_e32 v8, 1, v6
	v_cmp_le_u32_e32 vcc_lo, s33, v5
	v_xor_b32_e32 v7, s16, v7
	v_cndmask_b32_e32 v5, v6, v8, vcc_lo
	v_mul_lo_u32 v6, v3, s19
	s_andn2_b32 vcc_lo, exec_lo, s49
	v_xor_b32_e32 v5, v5, v7
	v_sub_nc_u32_e32 v18, v2, v6
	v_sub_nc_u32_e32 v20, v5, v7
	v_mul_lo_u32 v5, v2, s34
	v_mul_lo_u32 v7, v4, s18
	;; [unrolled: 1-line block ×3, first 2 shown]
	v_sub_nc_u32_e32 v17, v0, v5
	v_sub_nc_u32_e32 v19, v3, v7
	;; [unrolled: 1-line block ×3, first 2 shown]
	s_cbranch_vccnz .LBB16_18
; %bb.5:                                ;   in Loop: Header=BB16_4 Depth=1
	v_mul_lo_u32 v22, v21, s45
	v_mul_lo_u32 v4, s38, v20
	v_add_nc_u32_e32 v23, s13, v17
	v_add_nc_u32_e32 v24, s12, v18
	;; [unrolled: 1-line block ×3, first 2 shown]
	s_mov_b32 s63, 0
	v_mul_lo_u32 v2, s27, v22
	v_ashrrev_i32_e32 v5, 31, v4
	v_add_nc_u32_e32 v26, s45, v22
	v_lshlrev_b64 v[8:9], 3, v[4:5]
	v_ashrrev_i32_e32 v3, 31, v2
	v_lshlrev_b64 v[6:7], 3, v[2:3]
	v_mov_b32_e32 v2, 0
	v_mov_b32_e32 v3, 0
	v_add_co_u32 v4, vcc_lo, s42, v6
	v_add_co_ci_u32_e64 v5, null, s43, v7, vcc_lo
	v_add_co_u32 v27, vcc_lo, s36, v8
	v_add_co_ci_u32_e64 v28, null, s37, v9, vcc_lo
	s_branch .LBB16_7
.LBB16_6:                               ;   in Loop: Header=BB16_7 Depth=2
	v_add_nc_u32_e32 v22, 1, v22
	v_cmp_ge_i32_e32 vcc_lo, v22, v26
	s_or_b32 s63, vcc_lo, s63
	s_andn2_b32 exec_lo, exec_lo, s63
	s_cbranch_execz .LBB16_2
.LBB16_7:                               ;   Parent Loop BB16_4 Depth=1
                                        ; =>  This Loop Header: Depth=2
                                        ;       Child Loop BB16_10 Depth 3
                                        ;         Child Loop BB16_13 Depth 4
                                        ;           Child Loop BB16_16 Depth 5
	s_andn2_b32 vcc_lo, exec_lo, s46
	s_cbranch_vccnz .LBB16_6
; %bb.8:                                ;   in Loop: Header=BB16_7 Depth=2
	v_mul_lo_u32 v6, s39, v22
	s_mov_b32 s64, 0
	v_ashrrev_i32_e32 v7, 31, v6
	v_lshlrev_b64 v[6:7], 3, v[6:7]
	v_add_co_u32 v29, vcc_lo, v27, v6
	v_add_co_ci_u32_e64 v30, null, v28, v7, vcc_lo
	s_branch .LBB16_10
.LBB16_9:                               ;   in Loop: Header=BB16_10 Depth=3
	s_add_i32 s64, s64, 1
	s_cmp_eq_u32 s64, s24
	s_cbranch_scc1 .LBB16_6
.LBB16_10:                              ;   Parent Loop BB16_4 Depth=1
                                        ;     Parent Loop BB16_7 Depth=2
                                        ; =>    This Loop Header: Depth=3
                                        ;         Child Loop BB16_13 Depth 4
                                        ;           Child Loop BB16_16 Depth 5
	s_andn2_b32 vcc_lo, exec_lo, s47
	s_cbranch_vccnz .LBB16_9
; %bb.11:                               ;   in Loop: Header=BB16_10 Depth=3
	s_mul_i32 s0, s14, s64
	s_mov_b32 s65, 0
	v_subrev_nc_u32_e32 v6, s0, v25
	v_sub_nc_u32_e32 v7, 0, v6
	v_max_i32_e32 v7, v6, v7
	v_mul_hi_u32 v8, v7, v14
	v_mul_lo_u32 v9, v8, s53
	v_sub_nc_u32_e32 v7, v7, v9
	v_add_nc_u32_e32 v9, 1, v8
	v_subrev_nc_u32_e32 v31, s53, v7
	v_cmp_le_u32_e32 vcc_lo, s53, v7
	v_cndmask_b32_e32 v8, v8, v9, vcc_lo
	v_cndmask_b32_e32 v7, v7, v31, vcc_lo
	v_ashrrev_i32_e32 v9, 31, v6
	v_add_nc_u32_e32 v31, 1, v8
	v_cmp_le_u32_e32 vcc_lo, s53, v7
	v_xor_b32_e32 v9, s60, v9
	v_cndmask_b32_e32 v7, v8, v31, vcc_lo
	v_xor_b32_e32 v7, v7, v9
	v_sub_nc_u32_e32 v7, v7, v9
	v_mul_lo_u32 v8, v7, s8
	v_mul_lo_u32 v31, v7, s22
	v_cmp_lt_i32_e64 s0, -1, v7
	v_cmp_gt_i32_e64 s1, s21, v7
	v_cmp_eq_u32_e64 s2, v8, v6
	s_branch .LBB16_13
.LBB16_12:                              ;   in Loop: Header=BB16_13 Depth=4
	s_add_i32 s65, s65, 1
	s_cmp_eq_u32 s65, s25
	s_cbranch_scc1 .LBB16_9
.LBB16_13:                              ;   Parent Loop BB16_4 Depth=1
                                        ;     Parent Loop BB16_7 Depth=2
                                        ;       Parent Loop BB16_10 Depth=3
                                        ; =>      This Loop Header: Depth=4
                                        ;           Child Loop BB16_16 Depth 5
	s_andn2_b32 vcc_lo, exec_lo, s48
	s_cbranch_vccnz .LBB16_12
; %bb.14:                               ;   in Loop: Header=BB16_13 Depth=4
	s_mul_i32 s3, s15, s65
	v_mov_b32_e32 v33, v23
	v_subrev_nc_u32_e32 v6, s3, v24
	s_mov_b32 s67, s26
	v_sub_nc_u32_e32 v7, 0, v6
	v_max_i32_e32 v7, v6, v7
	v_mul_hi_u32 v8, v7, v15
	v_mul_lo_u32 v9, v8, s54
	v_sub_nc_u32_e32 v7, v7, v9
	v_add_nc_u32_e32 v9, 1, v8
	v_subrev_nc_u32_e32 v32, s54, v7
	v_cmp_le_u32_e32 vcc_lo, s54, v7
	v_cndmask_b32_e32 v8, v8, v9, vcc_lo
	v_cndmask_b32_e32 v7, v7, v32, vcc_lo
	v_ashrrev_i32_e32 v9, 31, v6
	v_add_nc_u32_e32 v32, 1, v8
	v_cmp_le_u32_e32 vcc_lo, s54, v7
	v_xor_b32_e32 v9, s61, v9
	v_cndmask_b32_e32 v7, v8, v32, vcc_lo
	v_xor_b32_e32 v7, v7, v9
	v_sub_nc_u32_e32 v7, v7, v9
	v_mul_lo_u32 v8, v7, s9
	v_add_nc_u32_e32 v9, v7, v31
	v_cmp_gt_i32_e64 s3, s22, v7
	v_cmp_lt_i32_e32 vcc_lo, -1, v7
	v_mul_lo_u32 v32, v9, s23
	v_cmp_eq_u32_e64 s4, v8, v6
	s_and_b32 s66, s2, s4
	s_branch .LBB16_16
.LBB16_15:                              ;   in Loop: Header=BB16_16 Depth=5
	s_or_b32 exec_lo, exec_lo, s5
	s_waitcnt vmcnt(0)
	v_fma_f64 v[6:7], v[6:7], v[8:9], v[2:3]
	v_mul_lo_u32 v8, v34, s10
	v_add_co_u32 v4, s5, v4, 8
	v_add_co_ci_u32_e64 v5, null, 0, v5, s5
	s_add_i32 s67, s67, -1
	v_cmp_eq_u32_e64 s4, v33, v8
	v_subrev_nc_u32_e32 v33, s20, v33
	s_and_b32 s4, s66, s4
	s_cmp_eq_u32 s67, 0
	v_cndmask_b32_e64 v3, v3, v7, s4
	v_cndmask_b32_e64 v2, v2, v6, s4
	s_cbranch_scc1 .LBB16_12
.LBB16_16:                              ;   Parent Loop BB16_4 Depth=1
                                        ;     Parent Loop BB16_7 Depth=2
                                        ;       Parent Loop BB16_10 Depth=3
                                        ;         Parent Loop BB16_13 Depth=4
                                        ; =>        This Inner Loop Header: Depth=5
	global_load_dwordx2 v[6:7], v[4:5], off
	v_sub_nc_u32_e32 v8, 0, v33
	v_max_i32_e32 v8, v33, v8
	v_mul_hi_u32 v9, v8, v16
	v_mul_lo_u32 v34, v9, s55
	v_sub_nc_u32_e32 v8, v8, v34
	v_add_nc_u32_e32 v34, 1, v9
	v_subrev_nc_u32_e32 v35, s55, v8
	v_cmp_le_u32_e64 s4, s55, v8
	v_cndmask_b32_e64 v9, v9, v34, s4
	v_cndmask_b32_e64 v8, v8, v35, s4
	v_ashrrev_i32_e32 v34, 31, v33
	v_add_nc_u32_e32 v35, 1, v9
	v_cmp_le_u32_e64 s4, s55, v8
	v_xor_b32_e32 v34, s62, v34
	v_cndmask_b32_e64 v8, v9, v35, s4
	v_xor_b32_e32 v8, v8, v34
	v_sub_nc_u32_e32 v34, v8, v34
	v_mov_b32_e32 v8, 0
	v_mov_b32_e32 v9, 0
	v_cmp_lt_i32_e64 s4, -1, v34
	v_cmp_gt_i32_e64 s5, s23, v34
	s_and_b32 s4, s4, vcc_lo
	s_and_b32 s4, s4, s0
	s_and_b32 s4, s5, s4
	;; [unrolled: 1-line block ×4, first 2 shown]
	s_and_saveexec_b32 s5, s4
	s_cbranch_execz .LBB16_15
; %bb.17:                               ;   in Loop: Header=BB16_16 Depth=5
	v_add_nc_u32_e32 v8, v34, v32
	v_ashrrev_i32_e32 v9, 31, v8
	v_lshlrev_b64 v[8:9], 3, v[8:9]
	v_add_co_u32 v8, s4, v29, v8
	v_add_co_ci_u32_e64 v9, null, v30, v9, s4
	global_load_dwordx2 v[8:9], v[8:9], off
	s_branch .LBB16_15
.LBB16_18:                              ;   in Loop: Header=BB16_4 Depth=1
	v_mov_b32_e32 v2, 0
	v_mov_b32_e32 v3, 0
	s_branch .LBB16_3
.LBB16_19:
	s_endpgm
	.section	.rodata,"a",@progbits
	.p2align	6, 0x0
	.amdhsa_kernel _ZN2at6native12_GLOBAL__N_143conv_depthwise3d_cuda_backward_input_kernelIddLin1ELin1ELin1ELin1ELin1ELin1ELin1ELin1ELin1EEEvN5torch10headeronly6detail27GenericPackedTensorAccessorINS5_14TensorAccessorIN3c108ArrayRefIlEEKT_Lm4ENS4_16DefaultPtrTraitsEiEENS_6detail16IndexBoundsCheckILm5EiEESC_Lm5ESD_iEENS6_INS7_ISA_SB_Lm4ESD_iEESH_SB_Lm5ESD_iEESI_iiiiiiiii
		.amdhsa_group_segment_fixed_size 0
		.amdhsa_private_segment_fixed_size 0
		.amdhsa_kernarg_size 440
		.amdhsa_user_sgpr_count 6
		.amdhsa_user_sgpr_private_segment_buffer 1
		.amdhsa_user_sgpr_dispatch_ptr 0
		.amdhsa_user_sgpr_queue_ptr 0
		.amdhsa_user_sgpr_kernarg_segment_ptr 1
		.amdhsa_user_sgpr_dispatch_id 0
		.amdhsa_user_sgpr_flat_scratch_init 0
		.amdhsa_user_sgpr_private_segment_size 0
		.amdhsa_wavefront_size32 1
		.amdhsa_uses_dynamic_stack 0
		.amdhsa_system_sgpr_private_segment_wavefront_offset 0
		.amdhsa_system_sgpr_workgroup_id_x 1
		.amdhsa_system_sgpr_workgroup_id_y 0
		.amdhsa_system_sgpr_workgroup_id_z 0
		.amdhsa_system_sgpr_workgroup_info 0
		.amdhsa_system_vgpr_workitem_id 0
		.amdhsa_next_free_vgpr 36
		.amdhsa_next_free_sgpr 68
		.amdhsa_reserve_vcc 1
		.amdhsa_reserve_flat_scratch 0
		.amdhsa_float_round_mode_32 0
		.amdhsa_float_round_mode_16_64 0
		.amdhsa_float_denorm_mode_32 3
		.amdhsa_float_denorm_mode_16_64 3
		.amdhsa_dx10_clamp 1
		.amdhsa_ieee_mode 1
		.amdhsa_fp16_overflow 0
		.amdhsa_workgroup_processor_mode 1
		.amdhsa_memory_ordered 1
		.amdhsa_forward_progress 1
		.amdhsa_shared_vgpr_count 0
		.amdhsa_exception_fp_ieee_invalid_op 0
		.amdhsa_exception_fp_denorm_src 0
		.amdhsa_exception_fp_ieee_div_zero 0
		.amdhsa_exception_fp_ieee_overflow 0
		.amdhsa_exception_fp_ieee_underflow 0
		.amdhsa_exception_fp_ieee_inexact 0
		.amdhsa_exception_int_div_zero 0
	.end_amdhsa_kernel
	.section	.text._ZN2at6native12_GLOBAL__N_143conv_depthwise3d_cuda_backward_input_kernelIddLin1ELin1ELin1ELin1ELin1ELin1ELin1ELin1ELin1EEEvN5torch10headeronly6detail27GenericPackedTensorAccessorINS5_14TensorAccessorIN3c108ArrayRefIlEEKT_Lm4ENS4_16DefaultPtrTraitsEiEENS_6detail16IndexBoundsCheckILm5EiEESC_Lm5ESD_iEENS6_INS7_ISA_SB_Lm4ESD_iEESH_SB_Lm5ESD_iEESI_iiiiiiiii,"axG",@progbits,_ZN2at6native12_GLOBAL__N_143conv_depthwise3d_cuda_backward_input_kernelIddLin1ELin1ELin1ELin1ELin1ELin1ELin1ELin1ELin1EEEvN5torch10headeronly6detail27GenericPackedTensorAccessorINS5_14TensorAccessorIN3c108ArrayRefIlEEKT_Lm4ENS4_16DefaultPtrTraitsEiEENS_6detail16IndexBoundsCheckILm5EiEESC_Lm5ESD_iEENS6_INS7_ISA_SB_Lm4ESD_iEESH_SB_Lm5ESD_iEESI_iiiiiiiii,comdat
.Lfunc_end16:
	.size	_ZN2at6native12_GLOBAL__N_143conv_depthwise3d_cuda_backward_input_kernelIddLin1ELin1ELin1ELin1ELin1ELin1ELin1ELin1ELin1EEEvN5torch10headeronly6detail27GenericPackedTensorAccessorINS5_14TensorAccessorIN3c108ArrayRefIlEEKT_Lm4ENS4_16DefaultPtrTraitsEiEENS_6detail16IndexBoundsCheckILm5EiEESC_Lm5ESD_iEENS6_INS7_ISA_SB_Lm4ESD_iEESH_SB_Lm5ESD_iEESI_iiiiiiiii, .Lfunc_end16-_ZN2at6native12_GLOBAL__N_143conv_depthwise3d_cuda_backward_input_kernelIddLin1ELin1ELin1ELin1ELin1ELin1ELin1ELin1ELin1EEEvN5torch10headeronly6detail27GenericPackedTensorAccessorINS5_14TensorAccessorIN3c108ArrayRefIlEEKT_Lm4ENS4_16DefaultPtrTraitsEiEENS_6detail16IndexBoundsCheckILm5EiEESC_Lm5ESD_iEENS6_INS7_ISA_SB_Lm4ESD_iEESH_SB_Lm5ESD_iEESI_iiiiiiiii
                                        ; -- End function
	.set _ZN2at6native12_GLOBAL__N_143conv_depthwise3d_cuda_backward_input_kernelIddLin1ELin1ELin1ELin1ELin1ELin1ELin1ELin1ELin1EEEvN5torch10headeronly6detail27GenericPackedTensorAccessorINS5_14TensorAccessorIN3c108ArrayRefIlEEKT_Lm4ENS4_16DefaultPtrTraitsEiEENS_6detail16IndexBoundsCheckILm5EiEESC_Lm5ESD_iEENS6_INS7_ISA_SB_Lm4ESD_iEESH_SB_Lm5ESD_iEESI_iiiiiiiii.num_vgpr, 36
	.set _ZN2at6native12_GLOBAL__N_143conv_depthwise3d_cuda_backward_input_kernelIddLin1ELin1ELin1ELin1ELin1ELin1ELin1ELin1ELin1EEEvN5torch10headeronly6detail27GenericPackedTensorAccessorINS5_14TensorAccessorIN3c108ArrayRefIlEEKT_Lm4ENS4_16DefaultPtrTraitsEiEENS_6detail16IndexBoundsCheckILm5EiEESC_Lm5ESD_iEENS6_INS7_ISA_SB_Lm4ESD_iEESH_SB_Lm5ESD_iEESI_iiiiiiiii.num_agpr, 0
	.set _ZN2at6native12_GLOBAL__N_143conv_depthwise3d_cuda_backward_input_kernelIddLin1ELin1ELin1ELin1ELin1ELin1ELin1ELin1ELin1EEEvN5torch10headeronly6detail27GenericPackedTensorAccessorINS5_14TensorAccessorIN3c108ArrayRefIlEEKT_Lm4ENS4_16DefaultPtrTraitsEiEENS_6detail16IndexBoundsCheckILm5EiEESC_Lm5ESD_iEENS6_INS7_ISA_SB_Lm4ESD_iEESH_SB_Lm5ESD_iEESI_iiiiiiiii.numbered_sgpr, 68
	.set _ZN2at6native12_GLOBAL__N_143conv_depthwise3d_cuda_backward_input_kernelIddLin1ELin1ELin1ELin1ELin1ELin1ELin1ELin1ELin1EEEvN5torch10headeronly6detail27GenericPackedTensorAccessorINS5_14TensorAccessorIN3c108ArrayRefIlEEKT_Lm4ENS4_16DefaultPtrTraitsEiEENS_6detail16IndexBoundsCheckILm5EiEESC_Lm5ESD_iEENS6_INS7_ISA_SB_Lm4ESD_iEESH_SB_Lm5ESD_iEESI_iiiiiiiii.num_named_barrier, 0
	.set _ZN2at6native12_GLOBAL__N_143conv_depthwise3d_cuda_backward_input_kernelIddLin1ELin1ELin1ELin1ELin1ELin1ELin1ELin1ELin1EEEvN5torch10headeronly6detail27GenericPackedTensorAccessorINS5_14TensorAccessorIN3c108ArrayRefIlEEKT_Lm4ENS4_16DefaultPtrTraitsEiEENS_6detail16IndexBoundsCheckILm5EiEESC_Lm5ESD_iEENS6_INS7_ISA_SB_Lm4ESD_iEESH_SB_Lm5ESD_iEESI_iiiiiiiii.private_seg_size, 0
	.set _ZN2at6native12_GLOBAL__N_143conv_depthwise3d_cuda_backward_input_kernelIddLin1ELin1ELin1ELin1ELin1ELin1ELin1ELin1ELin1EEEvN5torch10headeronly6detail27GenericPackedTensorAccessorINS5_14TensorAccessorIN3c108ArrayRefIlEEKT_Lm4ENS4_16DefaultPtrTraitsEiEENS_6detail16IndexBoundsCheckILm5EiEESC_Lm5ESD_iEENS6_INS7_ISA_SB_Lm4ESD_iEESH_SB_Lm5ESD_iEESI_iiiiiiiii.uses_vcc, 1
	.set _ZN2at6native12_GLOBAL__N_143conv_depthwise3d_cuda_backward_input_kernelIddLin1ELin1ELin1ELin1ELin1ELin1ELin1ELin1ELin1EEEvN5torch10headeronly6detail27GenericPackedTensorAccessorINS5_14TensorAccessorIN3c108ArrayRefIlEEKT_Lm4ENS4_16DefaultPtrTraitsEiEENS_6detail16IndexBoundsCheckILm5EiEESC_Lm5ESD_iEENS6_INS7_ISA_SB_Lm4ESD_iEESH_SB_Lm5ESD_iEESI_iiiiiiiii.uses_flat_scratch, 0
	.set _ZN2at6native12_GLOBAL__N_143conv_depthwise3d_cuda_backward_input_kernelIddLin1ELin1ELin1ELin1ELin1ELin1ELin1ELin1ELin1EEEvN5torch10headeronly6detail27GenericPackedTensorAccessorINS5_14TensorAccessorIN3c108ArrayRefIlEEKT_Lm4ENS4_16DefaultPtrTraitsEiEENS_6detail16IndexBoundsCheckILm5EiEESC_Lm5ESD_iEENS6_INS7_ISA_SB_Lm4ESD_iEESH_SB_Lm5ESD_iEESI_iiiiiiiii.has_dyn_sized_stack, 0
	.set _ZN2at6native12_GLOBAL__N_143conv_depthwise3d_cuda_backward_input_kernelIddLin1ELin1ELin1ELin1ELin1ELin1ELin1ELin1ELin1EEEvN5torch10headeronly6detail27GenericPackedTensorAccessorINS5_14TensorAccessorIN3c108ArrayRefIlEEKT_Lm4ENS4_16DefaultPtrTraitsEiEENS_6detail16IndexBoundsCheckILm5EiEESC_Lm5ESD_iEENS6_INS7_ISA_SB_Lm4ESD_iEESH_SB_Lm5ESD_iEESI_iiiiiiiii.has_recursion, 0
	.set _ZN2at6native12_GLOBAL__N_143conv_depthwise3d_cuda_backward_input_kernelIddLin1ELin1ELin1ELin1ELin1ELin1ELin1ELin1ELin1EEEvN5torch10headeronly6detail27GenericPackedTensorAccessorINS5_14TensorAccessorIN3c108ArrayRefIlEEKT_Lm4ENS4_16DefaultPtrTraitsEiEENS_6detail16IndexBoundsCheckILm5EiEESC_Lm5ESD_iEENS6_INS7_ISA_SB_Lm4ESD_iEESH_SB_Lm5ESD_iEESI_iiiiiiiii.has_indirect_call, 0
	.section	.AMDGPU.csdata,"",@progbits
; Kernel info:
; codeLenInByte = 2064
; TotalNumSgprs: 70
; NumVgprs: 36
; ScratchSize: 0
; MemoryBound: 0
; FloatMode: 240
; IeeeMode: 1
; LDSByteSize: 0 bytes/workgroup (compile time only)
; SGPRBlocks: 0
; VGPRBlocks: 4
; NumSGPRsForWavesPerEU: 70
; NumVGPRsForWavesPerEU: 36
; Occupancy: 16
; WaveLimiterHint : 0
; COMPUTE_PGM_RSRC2:SCRATCH_EN: 0
; COMPUTE_PGM_RSRC2:USER_SGPR: 6
; COMPUTE_PGM_RSRC2:TRAP_HANDLER: 0
; COMPUTE_PGM_RSRC2:TGID_X_EN: 1
; COMPUTE_PGM_RSRC2:TGID_Y_EN: 0
; COMPUTE_PGM_RSRC2:TGID_Z_EN: 0
; COMPUTE_PGM_RSRC2:TIDIG_COMP_CNT: 0
	.section	.text._ZN2at6native12_GLOBAL__N_143conv_depthwise3d_cuda_backward_input_kernelIffLi3ELi3ELi3ELi1ELi1ELi1ELi1ELi1ELi1EEEvN5torch10headeronly6detail27GenericPackedTensorAccessorINS5_14TensorAccessorIN3c108ArrayRefIlEEKT_Lm4ENS4_16DefaultPtrTraitsEiEENS_6detail16IndexBoundsCheckILm5EiEESC_Lm5ESD_iEENS6_INS7_ISA_SB_Lm4ESD_iEESH_SB_Lm5ESD_iEESI_iiiiiiiii,"axG",@progbits,_ZN2at6native12_GLOBAL__N_143conv_depthwise3d_cuda_backward_input_kernelIffLi3ELi3ELi3ELi1ELi1ELi1ELi1ELi1ELi1EEEvN5torch10headeronly6detail27GenericPackedTensorAccessorINS5_14TensorAccessorIN3c108ArrayRefIlEEKT_Lm4ENS4_16DefaultPtrTraitsEiEENS_6detail16IndexBoundsCheckILm5EiEESC_Lm5ESD_iEENS6_INS7_ISA_SB_Lm4ESD_iEESH_SB_Lm5ESD_iEESI_iiiiiiiii,comdat
	.globl	_ZN2at6native12_GLOBAL__N_143conv_depthwise3d_cuda_backward_input_kernelIffLi3ELi3ELi3ELi1ELi1ELi1ELi1ELi1ELi1EEEvN5torch10headeronly6detail27GenericPackedTensorAccessorINS5_14TensorAccessorIN3c108ArrayRefIlEEKT_Lm4ENS4_16DefaultPtrTraitsEiEENS_6detail16IndexBoundsCheckILm5EiEESC_Lm5ESD_iEENS6_INS7_ISA_SB_Lm4ESD_iEESH_SB_Lm5ESD_iEESI_iiiiiiiii ; -- Begin function _ZN2at6native12_GLOBAL__N_143conv_depthwise3d_cuda_backward_input_kernelIffLi3ELi3ELi3ELi1ELi1ELi1ELi1ELi1ELi1EEEvN5torch10headeronly6detail27GenericPackedTensorAccessorINS5_14TensorAccessorIN3c108ArrayRefIlEEKT_Lm4ENS4_16DefaultPtrTraitsEiEENS_6detail16IndexBoundsCheckILm5EiEESC_Lm5ESD_iEENS6_INS7_ISA_SB_Lm4ESD_iEESH_SB_Lm5ESD_iEESI_iiiiiiiii
	.p2align	8
	.type	_ZN2at6native12_GLOBAL__N_143conv_depthwise3d_cuda_backward_input_kernelIffLi3ELi3ELi3ELi1ELi1ELi1ELi1ELi1ELi1EEEvN5torch10headeronly6detail27GenericPackedTensorAccessorINS5_14TensorAccessorIN3c108ArrayRefIlEEKT_Lm4ENS4_16DefaultPtrTraitsEiEENS_6detail16IndexBoundsCheckILm5EiEESC_Lm5ESD_iEENS6_INS7_ISA_SB_Lm4ESD_iEESH_SB_Lm5ESD_iEESI_iiiiiiiii,@function
_ZN2at6native12_GLOBAL__N_143conv_depthwise3d_cuda_backward_input_kernelIffLi3ELi3ELi3ELi1ELi1ELi1ELi1ELi1ELi1EEEvN5torch10headeronly6detail27GenericPackedTensorAccessorINS5_14TensorAccessorIN3c108ArrayRefIlEEKT_Lm4ENS4_16DefaultPtrTraitsEiEENS_6detail16IndexBoundsCheckILm5EiEESC_Lm5ESD_iEENS6_INS7_ISA_SB_Lm4ESD_iEESH_SB_Lm5ESD_iEESI_iiiiiiiii: ; @_ZN2at6native12_GLOBAL__N_143conv_depthwise3d_cuda_backward_input_kernelIffLi3ELi3ELi3ELi1ELi1ELi1ELi1ELi1ELi1EEEvN5torch10headeronly6detail27GenericPackedTensorAccessorINS5_14TensorAccessorIN3c108ArrayRefIlEEKT_Lm4ENS4_16DefaultPtrTraitsEiEENS_6detail16IndexBoundsCheckILm5EiEESC_Lm5ESD_iEENS6_INS7_ISA_SB_Lm4ESD_iEESH_SB_Lm5ESD_iEESI_iiiiiiiii
; %bb.0:
	s_mov_b64 s[74:75], s[2:3]
	s_mov_b64 s[72:73], s[0:1]
	s_clause 0x2
	s_load_dwordx4 s[8:11], s[4:5], 0x38
	s_load_dword s2, s[4:5], 0xc4
	s_load_dwordx2 s[24:25], s[4:5], 0x48
	s_add_u32 s72, s72, s7
	s_addc_u32 s73, s73, 0
	s_waitcnt lgkmcnt(0)
	s_abs_i32 s33, s9
	s_add_u32 s0, s4, 0xb8
	v_cvt_f32_u32_e32 v1, s33
	s_addc_u32 s1, s5, 0
	s_and_b32 s2, s2, 0xffff
	v_rcp_iflag_f32_e32 v2, v1
	v_mov_b32_e32 v1, 0
	v_mad_u64_u32 v[0:1], null, s2, s6, v[0:1]
	s_mul_i32 s6, s25, s8
	s_mov_b32 s8, exec_lo
	v_mul_f32_e32 v2, 0x4f7ffffe, v2
	s_ashr_i32 s7, s6, 31
	v_cvt_u32_f32_e32 v2, v2
	v_readfirstlane_b32 s3, v2
	v_cmpx_gt_i64_e64 s[6:7], v[0:1]
	s_cbranch_execz .LBB17_62
; %bb.1:
	s_clause 0x1
	s_load_dwordx4 s[12:15], s[4:5], 0xc
	s_load_dwordx2 s[26:27], s[4:5], 0x0
	s_sub_i32 s20, 0, s33
	s_mul_i32 s8, s20, s3
	v_mul_lo_u32 v6, s20, v2
	s_mul_hi_u32 s8, s3, s8
	s_add_i32 s3, s3, s8
	s_ashr_i32 s8, s9, 31
	v_mul_hi_u32 v6, v2, v6
	s_waitcnt lgkmcnt(0)
	s_abs_i32 s16, s12
	s_ashr_i32 s12, s12, 31
	s_mul_hi_u32 s3, s16, s3
	s_xor_b32 s12, s12, s8
	s_mul_i32 s17, s3, s33
	v_add_nc_u32_e32 v2, v2, v6
	s_sub_i32 s16, s16, s17
	s_add_i32 s17, s3, 1
	s_sub_i32 s18, s16, s33
	s_cmp_ge_u32 s16, s33
	s_cselect_b32 s3, s17, s3
	s_cselect_b32 s16, s18, s16
	s_add_i32 s17, s3, 1
	s_cmp_ge_u32 s16, s33
	s_cselect_b32 s3, s17, s3
	s_load_dword s0, s[0:1], 0x0
	s_load_dwordx4 s[16:19], s[4:5], 0x9c
	s_xor_b32 s3, s3, s12
	s_waitcnt lgkmcnt(0)
	s_clause 0x2
	s_load_dword s19, s[4:5], 0x7c
	s_load_dwordx2 s[28:29], s[4:5], 0x1c
	s_load_dwordx2 s[30:31], s[4:5], 0x30
	s_sub_i32 s12, s3, s12
	s_cmp_gt_i32 s12, 0
	s_cselect_b32 s36, -1, 0
	s_abs_i32 s37, s24
	s_abs_i32 s38, s11
	s_abs_i32 s39, s10
	v_cvt_f32_u32_e32 v3, s37
	v_cvt_f32_u32_e32 v4, s38
	;; [unrolled: 1-line block ×3, first 2 shown]
	s_sub_i32 s1, 0, s37
	s_sub_i32 s3, 0, s38
	v_rcp_iflag_f32_e32 v3, v3
	v_rcp_iflag_f32_e32 v4, v4
	;; [unrolled: 1-line block ×3, first 2 shown]
	s_sub_i32 s20, 0, s39
	s_mul_i32 s40, s0, s2
	s_ashr_i32 s41, s24, 31
	s_ashr_i32 s42, s11, 31
	;; [unrolled: 1-line block ×3, first 2 shown]
	s_waitcnt lgkmcnt(0)
	s_mul_i32 s44, s29, s12
	v_mul_f32_e32 v3, 0x4f7ffffe, v3
	v_mul_f32_e32 v4, 0x4f7ffffe, v4
	;; [unrolled: 1-line block ×3, first 2 shown]
	v_cvt_u32_f32_e32 v3, v3
	v_cvt_u32_f32_e32 v4, v4
	;; [unrolled: 1-line block ×3, first 2 shown]
	v_mul_lo_u32 v7, s1, v3
	v_mul_lo_u32 v8, s3, v4
	;; [unrolled: 1-line block ×3, first 2 shown]
	s_clause 0x1
	s_load_dwordx2 s[34:35], s[4:5], 0x60
	s_load_dwordx4 s[20:23], s[4:5], 0x50
	buffer_store_dword v2, off, s[72:75], 0 ; 4-byte Folded Spill
	s_mov_b32 s5, 0
	v_mul_hi_u32 v7, v3, v7
	v_mul_hi_u32 v8, v4, v8
	;; [unrolled: 1-line block ×3, first 2 shown]
	v_add_nc_u32_e32 v2, v3, v7
	v_add_nc_u32_e32 v62, v4, v8
	v_add_nc_u32_e32 v63, v5, v9
	buffer_store_dword v2, off, s[72:75], 0 offset:4 ; 4-byte Folded Spill
	s_branch .LBB17_4
.LBB17_2:                               ;   in Loop: Header=BB17_4 Depth=1
	s_or_b32 exec_lo, exec_lo, s67
.LBB17_3:                               ;   in Loop: Header=BB17_4 Depth=1
	v_mul_lo_u32 v2, v67, s25
	s_waitcnt lgkmcnt(0)
	v_mul_lo_u32 v4, s20, v68
	v_mul_lo_u32 v6, s21, v66
	;; [unrolled: 1-line block ×3, first 2 shown]
	v_add_co_u32 v0, vcc_lo, v0, s40
	v_add_co_ci_u32_e64 v1, null, 0, v1, vcc_lo
	v_ashrrev_i32_e32 v3, 31, v2
	v_ashrrev_i32_e32 v5, 31, v4
	;; [unrolled: 1-line block ×3, first 2 shown]
	v_mul_lo_u32 v10, s23, v64
	v_ashrrev_i32_e32 v9, 31, v8
	v_lshlrev_b64 v[2:3], 2, v[2:3]
	v_lshlrev_b64 v[4:5], 2, v[4:5]
	v_ashrrev_i32_e32 v11, 31, v10
	v_add_co_u32 v12, vcc_lo, s30, v2
	v_add_co_ci_u32_e64 v13, null, s31, v3, vcc_lo
	v_lshlrev_b64 v[2:3], 2, v[6:7]
	v_add_co_u32 v6, vcc_lo, v12, v4
	v_add_co_ci_u32_e64 v7, null, v13, v5, vcc_lo
	v_lshlrev_b64 v[4:5], 2, v[8:9]
	;; [unrolled: 3-line block ×3, first 2 shown]
	v_add_co_u32 v4, vcc_lo, v6, v4
	v_add_co_ci_u32_e64 v5, null, v7, v5, vcc_lo
	v_cmp_le_i64_e32 vcc_lo, s[6:7], v[0:1]
	v_add_co_u32 v2, s0, v4, v2
	v_add_co_ci_u32_e64 v3, null, v5, v3, s0
	s_or_b32 s5, vcc_lo, s5
	global_store_dword v[2:3], v72, off
	s_andn2_b32 exec_lo, exec_lo, s5
	s_cbranch_execz .LBB17_62
.LBB17_4:                               ; =>This Loop Header: Depth=1
                                        ;     Child Loop BB17_7 Depth 2
	buffer_load_dword v3, off, s[72:75], 0 offset:4 ; 4-byte Folded Reload
	v_sub_nc_u32_e32 v2, 0, v0
	v_max_i32_e32 v2, v0, v2
	s_waitcnt vmcnt(0)
	v_mul_hi_u32 v3, v2, v3
	v_mul_lo_u32 v4, v3, s37
	v_sub_nc_u32_e32 v2, v2, v4
	v_add_nc_u32_e32 v4, 1, v3
	v_subrev_nc_u32_e32 v5, s37, v2
	v_cmp_le_u32_e32 vcc_lo, s37, v2
	v_cndmask_b32_e32 v3, v3, v4, vcc_lo
	v_cndmask_b32_e32 v2, v2, v5, vcc_lo
	v_ashrrev_i32_e32 v4, 31, v0
	v_add_nc_u32_e32 v5, 1, v3
	v_cmp_le_u32_e32 vcc_lo, s37, v2
	v_xor_b32_e32 v4, s41, v4
	v_cndmask_b32_e32 v2, v3, v5, vcc_lo
	v_xor_b32_e32 v2, v2, v4
	v_sub_nc_u32_e32 v2, v2, v4
	v_sub_nc_u32_e32 v3, 0, v2
	v_max_i32_e32 v3, v2, v3
	v_mul_hi_u32 v4, v3, v62
	v_mul_lo_u32 v5, v4, s38
	v_sub_nc_u32_e32 v3, v3, v5
	v_add_nc_u32_e32 v5, 1, v4
	v_subrev_nc_u32_e32 v6, s38, v3
	v_cmp_le_u32_e32 vcc_lo, s38, v3
	v_cndmask_b32_e32 v4, v4, v5, vcc_lo
	v_cndmask_b32_e32 v3, v3, v6, vcc_lo
	v_ashrrev_i32_e32 v5, 31, v2
	v_add_nc_u32_e32 v6, 1, v4
	v_cmp_le_u32_e32 vcc_lo, s38, v3
	v_xor_b32_e32 v5, s42, v5
	v_cndmask_b32_e32 v3, v4, v6, vcc_lo
	v_xor_b32_e32 v3, v3, v5
	v_sub_nc_u32_e32 v3, v3, v5
	v_sub_nc_u32_e32 v4, 0, v3
	v_max_i32_e32 v4, v3, v4
	v_mul_hi_u32 v5, v4, v63
	v_mul_lo_u32 v6, v5, s39
	v_sub_nc_u32_e32 v4, v4, v6
	v_add_nc_u32_e32 v6, 1, v5
	v_subrev_nc_u32_e32 v7, s39, v4
	v_cmp_le_u32_e32 vcc_lo, s39, v4
	v_cndmask_b32_e32 v5, v5, v6, vcc_lo
	v_cndmask_b32_e32 v4, v4, v7, vcc_lo
	v_ashrrev_i32_e32 v6, 31, v3
	v_add_nc_u32_e32 v7, 1, v5
	v_cmp_le_u32_e32 vcc_lo, s39, v4
	v_xor_b32_e32 v6, s43, v6
	v_cndmask_b32_e32 v4, v5, v7, vcc_lo
	v_xor_b32_e32 v4, v4, v6
	v_sub_nc_u32_e32 v4, v4, v6
	buffer_load_dword v6, off, s[72:75], 0  ; 4-byte Folded Reload
	v_sub_nc_u32_e32 v5, 0, v4
	v_max_i32_e32 v5, v4, v5
	s_waitcnt vmcnt(0)
	v_mul_hi_u32 v6, v5, v6
	v_mul_lo_u32 v7, v6, s33
	v_sub_nc_u32_e32 v5, v5, v7
	v_add_nc_u32_e32 v7, 1, v6
	v_subrev_nc_u32_e32 v8, s33, v5
	v_cmp_le_u32_e32 vcc_lo, s33, v5
	v_cndmask_b32_e32 v6, v6, v7, vcc_lo
	v_cndmask_b32_e32 v5, v5, v8, vcc_lo
	v_ashrrev_i32_e32 v7, 31, v4
	v_add_nc_u32_e32 v8, 1, v6
	v_cmp_le_u32_e32 vcc_lo, s33, v5
	v_xor_b32_e32 v7, s8, v7
	v_cndmask_b32_e32 v5, v6, v8, vcc_lo
	v_mul_lo_u32 v6, v3, s11
	s_andn2_b32 vcc_lo, exec_lo, s36
	v_xor_b32_e32 v5, v5, v7
	v_sub_nc_u32_e32 v65, v2, v6
	v_sub_nc_u32_e32 v67, v5, v7
	v_mul_lo_u32 v5, v2, s24
	v_mul_lo_u32 v7, v4, s10
	;; [unrolled: 1-line block ×3, first 2 shown]
	v_sub_nc_u32_e32 v64, v0, v5
	v_sub_nc_u32_e32 v66, v3, v7
	;; [unrolled: 1-line block ×3, first 2 shown]
	s_cbranch_vccnz .LBB17_61
; %bb.5:                                ;   in Loop: Header=BB17_4 Depth=1
	v_mul_lo_u32 v69, v68, s12
	v_mul_lo_u32 v2, s28, v67
	v_add_nc_u32_e32 v19, s16, v66
	v_add_nc_u32_e32 v25, s17, v65
	;; [unrolled: 1-line block ×3, first 2 shown]
	v_mul_lo_u32 v29, v19, s14
	v_mul_lo_u32 v4, s19, v69
	v_ashrrev_i32_e32 v3, 31, v2
	v_or_b32_e32 v6, v20, v25
	v_add_nc_u32_e32 v21, -1, v20
	v_cmp_gt_i32_e64 s0, s14, v25
	v_add_nc_u32_e32 v26, -2, v19
	v_lshlrev_b64 v[2:3], 2, v[2:3]
	v_add_nc_u32_e32 v7, v25, v29
	v_ashrrev_i32_e32 v5, 31, v4
	v_add_nc_u32_e32 v30, -1, v19
	v_cmp_gt_i32_e32 vcc_lo, s13, v19
	v_add_nc_u32_e32 v23, -2, v20
	v_add_co_u32 v70, s1, s26, v2
	v_lshlrev_b64 v[4:5], 2, v[4:5]
	v_add_co_ci_u32_e64 v71, null, s27, v3, s1
	v_mul_lo_u32 v8, v7, s15
	v_or_b32_e32 v7, v21, v25
	v_or_b32_e32 v27, v6, v26
	s_waitcnt lgkmcnt(0)
	v_add_co_u32 v2, s1, s34, v4
	v_or_b32_e32 v4, v6, v19
	v_add_co_ci_u32_e64 v3, null, s35, v5, s1
	v_cmp_gt_i32_e64 s1, s15, v20
	v_or_b32_e32 v31, v6, v30
	v_cmp_lt_i32_e64 s2, -1, v4
	v_or_b32_e32 v6, v7, v19
	v_or_b32_e32 v9, v23, v25
	s_and_b32 s63, s1, s0
	v_add_nc_u32_e32 v24, -1, v25
	s_and_b32 s2, s63, s2
	v_cmp_lt_i32_e64 s3, -1, v6
	s_and_b32 s45, s2, vcc_lo
	v_cmp_gt_i32_e64 s2, s15, v21
	v_or_b32_e32 v10, v9, v19
	v_or_b32_e32 v11, v20, v24
	;; [unrolled: 1-line block ×3, first 2 shown]
	v_add_nc_u32_e32 v12, v24, v29
	s_and_b32 s64, s2, s0
	v_cmp_lt_i32_e64 s4, -1, v10
	s_and_b32 s3, s64, s3
	v_or_b32_e32 v10, v11, v19
	s_and_b32 s46, s3, vcc_lo
	v_cmp_gt_i32_e64 s3, s15, v23
	v_mul_lo_u32 v15, v12, s15
	v_or_b32_e32 v12, v13, v19
	v_or_b32_e32 v14, v23, v24
	v_add_nc_u32_e32 v22, -2, v25
	s_and_b32 s65, s3, s0
	v_cmp_gt_i32_e64 s0, s14, v24
	s_and_b32 s4, s65, s4
	v_or_b32_e32 v16, v14, v19
	s_and_b32 s47, s4, vcc_lo
	v_cmp_lt_i32_e64 s4, -1, v10
	s_and_b32 s66, s1, s0
	s_and_b32 s67, s2, s0
	v_or_b32_e32 v32, v21, v22
	s_and_b32 s68, s3, s0
	s_and_b32 s4, s66, s4
	v_or_b32_e32 v17, v20, v22
	s_and_b32 s48, s4, vcc_lo
	v_cmp_lt_i32_e64 s4, -1, v12
	v_or_b32_e32 v18, v32, v19
	v_or_b32_e32 v34, v23, v22
	;; [unrolled: 1-line block ×4, first 2 shown]
	s_and_b32 s4, s67, s4
	v_or_b32_e32 v36, v11, v30
	s_and_b32 s49, s4, vcc_lo
	v_cmp_lt_i32_e64 s4, -1, v16
	v_add_nc_u32_e32 v16, v22, v29
	v_or_b32_e32 v41, v34, v19
	v_or_b32_e32 v38, v13, v30
	v_or_b32_e32 v39, v14, v30
	s_and_b32 s0, s68, s4
	v_mul_lo_u32 v37, v16, s15
	s_and_b32 s50, s0, vcc_lo
	v_cmp_gt_i32_e64 s0, s14, v22
	v_or_b32_e32 v16, v17, v19
	v_subrev_nc_u32_e32 v44, s14, v29
	v_or_b32_e32 v40, v17, v30
	v_or_b32_e32 v42, v32, v30
	s_and_b32 s70, s1, s0
	v_cmp_lt_i32_e64 s1, -1, v18
	s_and_b32 s69, s2, s0
	v_cmp_lt_i32_e64 s4, -1, v16
	;; [unrolled: 2-line block ×3, first 2 shown]
	s_and_b32 s1, s69, s1
	v_or_b32_e32 v55, v32, v26
	s_and_b32 s52, s1, vcc_lo
	v_cmp_lt_i32_e64 s1, -1, v41
	s_and_b32 s4, s70, s4
	s_and_b32 s0, s63, s0
	s_and_b32 s51, s4, vcc_lo
	v_add_nc_u32_e32 v32, v25, v44
	s_and_b32 s2, s71, s1
	v_cmp_gt_i32_e64 s1, s13, v30
	s_and_b32 s53, s2, vcc_lo
	v_cmp_lt_i32_e32 vcc_lo, -1, v33
	v_subrev_nc_u32_e32 v53, s14, v44
	v_or_b32_e32 v43, v34, v30
	s_and_b32 s54, s0, s1
	v_add_nc_u32_e32 v16, v20, v37
	s_and_b32 s0, s64, vcc_lo
	v_cmp_lt_i32_e32 vcc_lo, -1, v35
	s_and_b32 s55, s0, s1
	v_cmp_lt_i32_e64 s0, -1, v36
	v_add_nc_u32_e32 v18, v21, v37
	v_add_nc_u32_e32 v29, v23, v37
	s_and_b32 s2, s65, vcc_lo
	v_cmp_lt_i32_e32 vcc_lo, -1, v38
	s_and_b32 s0, s66, s0
	s_and_b32 s56, s2, s1
	;; [unrolled: 1-line block ×3, first 2 shown]
	v_mul_lo_u32 v37, v32, s15
	s_and_b32 s0, s67, vcc_lo
	v_cmp_lt_i32_e32 vcc_lo, -1, v39
	s_and_b32 s58, s0, s1
	v_cmp_lt_i32_e64 s0, -1, v40
	v_add_nc_u32_e32 v32, v24, v44
	v_add_nc_u32_e32 v45, v22, v44
	s_and_b32 s2, s68, vcc_lo
	v_cmp_lt_i32_e32 vcc_lo, -1, v42
	v_add_nc_u32_e32 v24, v24, v53
	v_or_b32_e32 v28, v7, v26
	s_and_b32 s59, s2, s1
	s_and_b32 s2, s70, s0
	v_cmp_lt_i32_e64 s0, -1, v43
	v_add_nc_u32_e32 v25, v25, v53
	v_add_nc_u32_e32 v22, v22, v53
	s_and_b32 s60, s2, s1
	s_and_b32 s2, s69, vcc_lo
	v_mul_lo_u32 v41, v32, s15
	v_mul_lo_u32 v46, v45, s15
	;; [unrolled: 1-line block ×3, first 2 shown]
	s_and_b32 s61, s2, s1
	v_cmp_lt_i32_e64 s2, -1, v27
	s_and_b32 s3, s71, s0
	v_cmp_lt_i32_e64 s0, -1, v28
	v_mul_lo_u32 v25, v25, s15
	v_mul_lo_u32 v22, v22, s15
	v_or_b32_e32 v49, v9, v26
	v_or_b32_e32 v51, v13, v26
	v_cmp_gt_i32_e32 vcc_lo, s13, v26
	v_or_b32_e32 v50, v11, v26
	s_and_b32 s62, s3, s1
	s_and_b32 s1, s63, s2
	;; [unrolled: 1-line block ×3, first 2 shown]
	v_add_nc_u32_e32 v31, v20, v37
	v_add_nc_u32_e32 v33, v21, v37
	;; [unrolled: 1-line block ×7, first 2 shown]
	s_and_b32 s63, s1, vcc_lo
	v_cmp_lt_i32_e64 s1, -1, v49
	v_cmp_lt_i32_e64 s0, -1, v51
	s_and_b32 s64, s4, vcc_lo
	v_cmp_lt_i32_e64 s4, -1, v55
	v_add_nc_u32_e32 v55, v20, v24
	v_add_nc_u32_e32 v4, v20, v8
	;; [unrolled: 1-line block ×6, first 2 shown]
	v_or_b32_e32 v52, v14, v26
	v_add_nc_u32_e32 v14, v23, v15
	v_or_b32_e32 v54, v17, v26
	v_or_b32_e32 v58, v34, v26
	v_add_nc_u32_e32 v41, v23, v41
	v_add_nc_u32_e32 v43, v20, v46
	v_cmp_lt_i32_e64 s2, -1, v50
	v_add_nc_u32_e32 v49, v20, v25
	v_add_nc_u32_e32 v51, v21, v25
	;; [unrolled: 1-line block ×8, first 2 shown]
	v_ashrrev_i32_e32 v30, 31, v29
	v_ashrrev_i32_e32 v32, 31, v31
	;; [unrolled: 1-line block ×7, first 2 shown]
	s_and_b32 s1, s65, s1
	s_and_b32 s0, s67, s0
	v_ashrrev_i32_e32 v56, 31, v55
	v_ashrrev_i32_e32 v5, 31, v4
	;; [unrolled: 1-line block ×12, first 2 shown]
	v_cmp_lt_i32_e64 s3, -1, v52
	v_ashrrev_i32_e32 v50, 31, v49
	v_ashrrev_i32_e32 v52, 31, v51
	s_and_b32 s65, s1, vcc_lo
	v_cmp_lt_i32_e64 s1, -1, v54
	s_and_b32 s2, s66, s2
	v_ashrrev_i32_e32 v54, 31, v53
	s_and_b32 s66, s0, vcc_lo
	v_cmp_lt_i32_e64 s0, -1, v58
	v_ashrrev_i32_e32 v58, 31, v57
	v_ashrrev_i32_e32 v60, 31, v59
	;; [unrolled: 1-line block ×5, first 2 shown]
	v_lshlrev_b64 v[20:21], 2, v[29:30]
	v_lshlrev_b64 v[22:23], 2, v[31:32]
	;; [unrolled: 1-line block ×8, first 2 shown]
	v_mul_lo_u32 v56, s44, v68
	v_lshlrev_b64 v[4:5], 2, v[4:5]
	v_lshlrev_b64 v[6:7], 2, v[6:7]
	;; [unrolled: 1-line block ×19, first 2 shown]
	v_add_nc_u32_e32 v73, s12, v69
	v_mov_b32_e32 v72, 0
	s_and_b32 s3, s68, s3
	s_and_b32 s1, s70, s1
	;; [unrolled: 1-line block ×4, first 2 shown]
	s_and_b32 s2, s2, vcc_lo
	s_and_b32 s3, s3, vcc_lo
	;; [unrolled: 1-line block ×5, first 2 shown]
	s_mov_b32 s67, 0
	s_branch .LBB17_7
.LBB17_6:                               ;   in Loop: Header=BB17_7 Depth=2
	s_or_b32 exec_lo, exec_lo, s0
	s_waitcnt vmcnt(26)
	v_fmac_f32_e32 v72, v74, v57
	v_add_nc_u32_e32 v69, 1, v69
	v_add_co_u32 v2, s0, 0x6c, v2
	v_add_co_ci_u32_e64 v3, null, 0, v3, s0
	s_waitcnt vmcnt(25)
	v_fmac_f32_e32 v72, v77, v79
	v_cmp_ge_i32_e32 vcc_lo, v69, v73
	v_add_nc_u32_e32 v56, s29, v56
	s_waitcnt vmcnt(24)
	v_fmac_f32_e32 v72, v80, v78
	s_or_b32 s67, vcc_lo, s67
	s_waitcnt vmcnt(23)
	v_fmac_f32_e32 v72, v81, v83
	s_waitcnt vmcnt(22)
	v_fmac_f32_e32 v72, v84, v82
	;; [unrolled: 2-line block ×24, first 2 shown]
	s_andn2_b32 exec_lo, exec_lo, s67
	s_cbranch_execz .LBB17_2
.LBB17_7:                               ;   Parent Loop BB17_4 Depth=1
                                        ; =>  This Inner Loop Header: Depth=2
	global_load_dword v74, v[2:3], off
	v_ashrrev_i32_e32 v57, 31, v56
	v_lshlrev_b64 v[75:76], 2, v[56:57]
	v_mov_b32_e32 v57, 0
	v_add_co_u32 v75, vcc_lo, v70, v75
	v_add_co_ci_u32_e64 v76, null, v71, v76, vcc_lo
	s_and_saveexec_b32 s0, s45
	s_cbranch_execz .LBB17_9
; %bb.8:                                ;   in Loop: Header=BB17_7 Depth=2
	v_add_co_u32 v77, vcc_lo, v75, v4
	v_add_co_ci_u32_e64 v78, null, v76, v5, vcc_lo
	global_load_dword v57, v[77:78], off
.LBB17_9:                               ;   in Loop: Header=BB17_7 Depth=2
	s_or_b32 exec_lo, exec_lo, s0
	global_load_dword v77, v[2:3], off offset:4
	v_mov_b32_e32 v78, 0
	v_mov_b32_e32 v79, 0
	s_and_saveexec_b32 s0, s46
	s_cbranch_execz .LBB17_11
; %bb.10:                               ;   in Loop: Header=BB17_7 Depth=2
	v_add_co_u32 v79, vcc_lo, v75, v6
	v_add_co_ci_u32_e64 v80, null, v76, v7, vcc_lo
	global_load_dword v79, v[79:80], off
.LBB17_11:                              ;   in Loop: Header=BB17_7 Depth=2
	s_or_b32 exec_lo, exec_lo, s0
	global_load_dword v80, v[2:3], off offset:8
	s_and_saveexec_b32 s0, s47
	s_cbranch_execz .LBB17_13
; %bb.12:                               ;   in Loop: Header=BB17_7 Depth=2
	v_add_co_u32 v81, vcc_lo, v75, v8
	v_add_co_ci_u32_e64 v82, null, v76, v9, vcc_lo
	global_load_dword v78, v[81:82], off
.LBB17_13:                              ;   in Loop: Header=BB17_7 Depth=2
	s_or_b32 exec_lo, exec_lo, s0
	global_load_dword v81, v[2:3], off offset:12
	v_mov_b32_e32 v82, 0
	v_mov_b32_e32 v83, 0
	s_and_saveexec_b32 s0, s48
	s_cbranch_execz .LBB17_15
; %bb.14:                               ;   in Loop: Header=BB17_7 Depth=2
	v_add_co_u32 v83, vcc_lo, v75, v10
	v_add_co_ci_u32_e64 v84, null, v76, v11, vcc_lo
	global_load_dword v83, v[83:84], off
.LBB17_15:                              ;   in Loop: Header=BB17_7 Depth=2
	s_or_b32 exec_lo, exec_lo, s0
	global_load_dword v84, v[2:3], off offset:16
	s_and_saveexec_b32 s0, s49
	s_cbranch_execz .LBB17_17
; %bb.16:                               ;   in Loop: Header=BB17_7 Depth=2
	v_add_co_u32 v85, vcc_lo, v75, v12
	v_add_co_ci_u32_e64 v86, null, v76, v13, vcc_lo
	global_load_dword v82, v[85:86], off
.LBB17_17:                              ;   in Loop: Header=BB17_7 Depth=2
	;; [unrolled: 20-line block ×12, first 2 shown]
	s_or_b32 exec_lo, exec_lo, s0
	global_load_dword v125, v[2:3], off offset:100
	v_mov_b32_e32 v126, 0
	v_mov_b32_e32 v127, 0
	s_and_saveexec_b32 s0, s4
	s_cbranch_execz .LBB17_59
; %bb.58:                               ;   in Loop: Header=BB17_7 Depth=2
	v_add_co_u32 v60, vcc_lo, v75, v54
	v_add_co_ci_u32_e64 v61, null, v76, v55, vcc_lo
	global_load_dword v127, v[60:61], off
.LBB17_59:                              ;   in Loop: Header=BB17_7 Depth=2
	s_or_b32 exec_lo, exec_lo, s0
	global_load_dword v60, v[2:3], off offset:104
	s_and_saveexec_b32 s0, s68
	s_cbranch_execz .LBB17_6
; %bb.60:                               ;   in Loop: Header=BB17_7 Depth=2
	v_add_co_u32 v75, vcc_lo, v75, v58
	v_add_co_ci_u32_e64 v76, null, v76, v59, vcc_lo
	global_load_dword v126, v[75:76], off
	s_branch .LBB17_6
.LBB17_61:                              ;   in Loop: Header=BB17_4 Depth=1
	v_mov_b32_e32 v72, 0
	s_branch .LBB17_3
.LBB17_62:
	s_endpgm
	.section	.rodata,"a",@progbits
	.p2align	6, 0x0
	.amdhsa_kernel _ZN2at6native12_GLOBAL__N_143conv_depthwise3d_cuda_backward_input_kernelIffLi3ELi3ELi3ELi1ELi1ELi1ELi1ELi1ELi1EEEvN5torch10headeronly6detail27GenericPackedTensorAccessorINS5_14TensorAccessorIN3c108ArrayRefIlEEKT_Lm4ENS4_16DefaultPtrTraitsEiEENS_6detail16IndexBoundsCheckILm5EiEESC_Lm5ESD_iEENS6_INS7_ISA_SB_Lm4ESD_iEESH_SB_Lm5ESD_iEESI_iiiiiiiii
		.amdhsa_group_segment_fixed_size 0
		.amdhsa_private_segment_fixed_size 12
		.amdhsa_kernarg_size 440
		.amdhsa_user_sgpr_count 6
		.amdhsa_user_sgpr_private_segment_buffer 1
		.amdhsa_user_sgpr_dispatch_ptr 0
		.amdhsa_user_sgpr_queue_ptr 0
		.amdhsa_user_sgpr_kernarg_segment_ptr 1
		.amdhsa_user_sgpr_dispatch_id 0
		.amdhsa_user_sgpr_flat_scratch_init 0
		.amdhsa_user_sgpr_private_segment_size 0
		.amdhsa_wavefront_size32 1
		.amdhsa_uses_dynamic_stack 0
		.amdhsa_system_sgpr_private_segment_wavefront_offset 1
		.amdhsa_system_sgpr_workgroup_id_x 1
		.amdhsa_system_sgpr_workgroup_id_y 0
		.amdhsa_system_sgpr_workgroup_id_z 0
		.amdhsa_system_sgpr_workgroup_info 0
		.amdhsa_system_vgpr_workitem_id 0
		.amdhsa_next_free_vgpr 128
		.amdhsa_next_free_sgpr 76
		.amdhsa_reserve_vcc 1
		.amdhsa_reserve_flat_scratch 0
		.amdhsa_float_round_mode_32 0
		.amdhsa_float_round_mode_16_64 0
		.amdhsa_float_denorm_mode_32 3
		.amdhsa_float_denorm_mode_16_64 3
		.amdhsa_dx10_clamp 1
		.amdhsa_ieee_mode 1
		.amdhsa_fp16_overflow 0
		.amdhsa_workgroup_processor_mode 1
		.amdhsa_memory_ordered 1
		.amdhsa_forward_progress 1
		.amdhsa_shared_vgpr_count 0
		.amdhsa_exception_fp_ieee_invalid_op 0
		.amdhsa_exception_fp_denorm_src 0
		.amdhsa_exception_fp_ieee_div_zero 0
		.amdhsa_exception_fp_ieee_overflow 0
		.amdhsa_exception_fp_ieee_underflow 0
		.amdhsa_exception_fp_ieee_inexact 0
		.amdhsa_exception_int_div_zero 0
	.end_amdhsa_kernel
	.section	.text._ZN2at6native12_GLOBAL__N_143conv_depthwise3d_cuda_backward_input_kernelIffLi3ELi3ELi3ELi1ELi1ELi1ELi1ELi1ELi1EEEvN5torch10headeronly6detail27GenericPackedTensorAccessorINS5_14TensorAccessorIN3c108ArrayRefIlEEKT_Lm4ENS4_16DefaultPtrTraitsEiEENS_6detail16IndexBoundsCheckILm5EiEESC_Lm5ESD_iEENS6_INS7_ISA_SB_Lm4ESD_iEESH_SB_Lm5ESD_iEESI_iiiiiiiii,"axG",@progbits,_ZN2at6native12_GLOBAL__N_143conv_depthwise3d_cuda_backward_input_kernelIffLi3ELi3ELi3ELi1ELi1ELi1ELi1ELi1ELi1EEEvN5torch10headeronly6detail27GenericPackedTensorAccessorINS5_14TensorAccessorIN3c108ArrayRefIlEEKT_Lm4ENS4_16DefaultPtrTraitsEiEENS_6detail16IndexBoundsCheckILm5EiEESC_Lm5ESD_iEENS6_INS7_ISA_SB_Lm4ESD_iEESH_SB_Lm5ESD_iEESI_iiiiiiiii,comdat
.Lfunc_end17:
	.size	_ZN2at6native12_GLOBAL__N_143conv_depthwise3d_cuda_backward_input_kernelIffLi3ELi3ELi3ELi1ELi1ELi1ELi1ELi1ELi1EEEvN5torch10headeronly6detail27GenericPackedTensorAccessorINS5_14TensorAccessorIN3c108ArrayRefIlEEKT_Lm4ENS4_16DefaultPtrTraitsEiEENS_6detail16IndexBoundsCheckILm5EiEESC_Lm5ESD_iEENS6_INS7_ISA_SB_Lm4ESD_iEESH_SB_Lm5ESD_iEESI_iiiiiiiii, .Lfunc_end17-_ZN2at6native12_GLOBAL__N_143conv_depthwise3d_cuda_backward_input_kernelIffLi3ELi3ELi3ELi1ELi1ELi1ELi1ELi1ELi1EEEvN5torch10headeronly6detail27GenericPackedTensorAccessorINS5_14TensorAccessorIN3c108ArrayRefIlEEKT_Lm4ENS4_16DefaultPtrTraitsEiEENS_6detail16IndexBoundsCheckILm5EiEESC_Lm5ESD_iEENS6_INS7_ISA_SB_Lm4ESD_iEESH_SB_Lm5ESD_iEESI_iiiiiiiii
                                        ; -- End function
	.set _ZN2at6native12_GLOBAL__N_143conv_depthwise3d_cuda_backward_input_kernelIffLi3ELi3ELi3ELi1ELi1ELi1ELi1ELi1ELi1EEEvN5torch10headeronly6detail27GenericPackedTensorAccessorINS5_14TensorAccessorIN3c108ArrayRefIlEEKT_Lm4ENS4_16DefaultPtrTraitsEiEENS_6detail16IndexBoundsCheckILm5EiEESC_Lm5ESD_iEENS6_INS7_ISA_SB_Lm4ESD_iEESH_SB_Lm5ESD_iEESI_iiiiiiiii.num_vgpr, 128
	.set _ZN2at6native12_GLOBAL__N_143conv_depthwise3d_cuda_backward_input_kernelIffLi3ELi3ELi3ELi1ELi1ELi1ELi1ELi1ELi1EEEvN5torch10headeronly6detail27GenericPackedTensorAccessorINS5_14TensorAccessorIN3c108ArrayRefIlEEKT_Lm4ENS4_16DefaultPtrTraitsEiEENS_6detail16IndexBoundsCheckILm5EiEESC_Lm5ESD_iEENS6_INS7_ISA_SB_Lm4ESD_iEESH_SB_Lm5ESD_iEESI_iiiiiiiii.num_agpr, 0
	.set _ZN2at6native12_GLOBAL__N_143conv_depthwise3d_cuda_backward_input_kernelIffLi3ELi3ELi3ELi1ELi1ELi1ELi1ELi1ELi1EEEvN5torch10headeronly6detail27GenericPackedTensorAccessorINS5_14TensorAccessorIN3c108ArrayRefIlEEKT_Lm4ENS4_16DefaultPtrTraitsEiEENS_6detail16IndexBoundsCheckILm5EiEESC_Lm5ESD_iEENS6_INS7_ISA_SB_Lm4ESD_iEESH_SB_Lm5ESD_iEESI_iiiiiiiii.numbered_sgpr, 76
	.set _ZN2at6native12_GLOBAL__N_143conv_depthwise3d_cuda_backward_input_kernelIffLi3ELi3ELi3ELi1ELi1ELi1ELi1ELi1ELi1EEEvN5torch10headeronly6detail27GenericPackedTensorAccessorINS5_14TensorAccessorIN3c108ArrayRefIlEEKT_Lm4ENS4_16DefaultPtrTraitsEiEENS_6detail16IndexBoundsCheckILm5EiEESC_Lm5ESD_iEENS6_INS7_ISA_SB_Lm4ESD_iEESH_SB_Lm5ESD_iEESI_iiiiiiiii.num_named_barrier, 0
	.set _ZN2at6native12_GLOBAL__N_143conv_depthwise3d_cuda_backward_input_kernelIffLi3ELi3ELi3ELi1ELi1ELi1ELi1ELi1ELi1EEEvN5torch10headeronly6detail27GenericPackedTensorAccessorINS5_14TensorAccessorIN3c108ArrayRefIlEEKT_Lm4ENS4_16DefaultPtrTraitsEiEENS_6detail16IndexBoundsCheckILm5EiEESC_Lm5ESD_iEENS6_INS7_ISA_SB_Lm4ESD_iEESH_SB_Lm5ESD_iEESI_iiiiiiiii.private_seg_size, 12
	.set _ZN2at6native12_GLOBAL__N_143conv_depthwise3d_cuda_backward_input_kernelIffLi3ELi3ELi3ELi1ELi1ELi1ELi1ELi1ELi1EEEvN5torch10headeronly6detail27GenericPackedTensorAccessorINS5_14TensorAccessorIN3c108ArrayRefIlEEKT_Lm4ENS4_16DefaultPtrTraitsEiEENS_6detail16IndexBoundsCheckILm5EiEESC_Lm5ESD_iEENS6_INS7_ISA_SB_Lm4ESD_iEESH_SB_Lm5ESD_iEESI_iiiiiiiii.uses_vcc, 1
	.set _ZN2at6native12_GLOBAL__N_143conv_depthwise3d_cuda_backward_input_kernelIffLi3ELi3ELi3ELi1ELi1ELi1ELi1ELi1ELi1EEEvN5torch10headeronly6detail27GenericPackedTensorAccessorINS5_14TensorAccessorIN3c108ArrayRefIlEEKT_Lm4ENS4_16DefaultPtrTraitsEiEENS_6detail16IndexBoundsCheckILm5EiEESC_Lm5ESD_iEENS6_INS7_ISA_SB_Lm4ESD_iEESH_SB_Lm5ESD_iEESI_iiiiiiiii.uses_flat_scratch, 0
	.set _ZN2at6native12_GLOBAL__N_143conv_depthwise3d_cuda_backward_input_kernelIffLi3ELi3ELi3ELi1ELi1ELi1ELi1ELi1ELi1EEEvN5torch10headeronly6detail27GenericPackedTensorAccessorINS5_14TensorAccessorIN3c108ArrayRefIlEEKT_Lm4ENS4_16DefaultPtrTraitsEiEENS_6detail16IndexBoundsCheckILm5EiEESC_Lm5ESD_iEENS6_INS7_ISA_SB_Lm4ESD_iEESH_SB_Lm5ESD_iEESI_iiiiiiiii.has_dyn_sized_stack, 0
	.set _ZN2at6native12_GLOBAL__N_143conv_depthwise3d_cuda_backward_input_kernelIffLi3ELi3ELi3ELi1ELi1ELi1ELi1ELi1ELi1EEEvN5torch10headeronly6detail27GenericPackedTensorAccessorINS5_14TensorAccessorIN3c108ArrayRefIlEEKT_Lm4ENS4_16DefaultPtrTraitsEiEENS_6detail16IndexBoundsCheckILm5EiEESC_Lm5ESD_iEENS6_INS7_ISA_SB_Lm4ESD_iEESH_SB_Lm5ESD_iEESI_iiiiiiiii.has_recursion, 0
	.set _ZN2at6native12_GLOBAL__N_143conv_depthwise3d_cuda_backward_input_kernelIffLi3ELi3ELi3ELi1ELi1ELi1ELi1ELi1ELi1EEEvN5torch10headeronly6detail27GenericPackedTensorAccessorINS5_14TensorAccessorIN3c108ArrayRefIlEEKT_Lm4ENS4_16DefaultPtrTraitsEiEENS_6detail16IndexBoundsCheckILm5EiEESC_Lm5ESD_iEENS6_INS7_ISA_SB_Lm4ESD_iEESH_SB_Lm5ESD_iEESI_iiiiiiiii.has_indirect_call, 0
	.section	.AMDGPU.csdata,"",@progbits
; Kernel info:
; codeLenInByte = 4096
; TotalNumSgprs: 78
; NumVgprs: 128
; ScratchSize: 12
; MemoryBound: 0
; FloatMode: 240
; IeeeMode: 1
; LDSByteSize: 0 bytes/workgroup (compile time only)
; SGPRBlocks: 0
; VGPRBlocks: 15
; NumSGPRsForWavesPerEU: 78
; NumVGPRsForWavesPerEU: 128
; Occupancy: 8
; WaveLimiterHint : 0
; COMPUTE_PGM_RSRC2:SCRATCH_EN: 1
; COMPUTE_PGM_RSRC2:USER_SGPR: 6
; COMPUTE_PGM_RSRC2:TRAP_HANDLER: 0
; COMPUTE_PGM_RSRC2:TGID_X_EN: 1
; COMPUTE_PGM_RSRC2:TGID_Y_EN: 0
; COMPUTE_PGM_RSRC2:TGID_Z_EN: 0
; COMPUTE_PGM_RSRC2:TIDIG_COMP_CNT: 0
	.section	.text._ZN2at6native12_GLOBAL__N_143conv_depthwise3d_cuda_backward_input_kernelIffLi3ELi3ELi3ELi1ELi1ELi1ELin1ELin1ELin1EEEvN5torch10headeronly6detail27GenericPackedTensorAccessorINS5_14TensorAccessorIN3c108ArrayRefIlEEKT_Lm4ENS4_16DefaultPtrTraitsEiEENS_6detail16IndexBoundsCheckILm5EiEESC_Lm5ESD_iEENS6_INS7_ISA_SB_Lm4ESD_iEESH_SB_Lm5ESD_iEESI_iiiiiiiii,"axG",@progbits,_ZN2at6native12_GLOBAL__N_143conv_depthwise3d_cuda_backward_input_kernelIffLi3ELi3ELi3ELi1ELi1ELi1ELin1ELin1ELin1EEEvN5torch10headeronly6detail27GenericPackedTensorAccessorINS5_14TensorAccessorIN3c108ArrayRefIlEEKT_Lm4ENS4_16DefaultPtrTraitsEiEENS_6detail16IndexBoundsCheckILm5EiEESC_Lm5ESD_iEENS6_INS7_ISA_SB_Lm4ESD_iEESH_SB_Lm5ESD_iEESI_iiiiiiiii,comdat
	.globl	_ZN2at6native12_GLOBAL__N_143conv_depthwise3d_cuda_backward_input_kernelIffLi3ELi3ELi3ELi1ELi1ELi1ELin1ELin1ELin1EEEvN5torch10headeronly6detail27GenericPackedTensorAccessorINS5_14TensorAccessorIN3c108ArrayRefIlEEKT_Lm4ENS4_16DefaultPtrTraitsEiEENS_6detail16IndexBoundsCheckILm5EiEESC_Lm5ESD_iEENS6_INS7_ISA_SB_Lm4ESD_iEESH_SB_Lm5ESD_iEESI_iiiiiiiii ; -- Begin function _ZN2at6native12_GLOBAL__N_143conv_depthwise3d_cuda_backward_input_kernelIffLi3ELi3ELi3ELi1ELi1ELi1ELin1ELin1ELin1EEEvN5torch10headeronly6detail27GenericPackedTensorAccessorINS5_14TensorAccessorIN3c108ArrayRefIlEEKT_Lm4ENS4_16DefaultPtrTraitsEiEENS_6detail16IndexBoundsCheckILm5EiEESC_Lm5ESD_iEENS6_INS7_ISA_SB_Lm4ESD_iEESH_SB_Lm5ESD_iEESI_iiiiiiiii
	.p2align	8
	.type	_ZN2at6native12_GLOBAL__N_143conv_depthwise3d_cuda_backward_input_kernelIffLi3ELi3ELi3ELi1ELi1ELi1ELin1ELin1ELin1EEEvN5torch10headeronly6detail27GenericPackedTensorAccessorINS5_14TensorAccessorIN3c108ArrayRefIlEEKT_Lm4ENS4_16DefaultPtrTraitsEiEENS_6detail16IndexBoundsCheckILm5EiEESC_Lm5ESD_iEENS6_INS7_ISA_SB_Lm4ESD_iEESH_SB_Lm5ESD_iEESI_iiiiiiiii,@function
_ZN2at6native12_GLOBAL__N_143conv_depthwise3d_cuda_backward_input_kernelIffLi3ELi3ELi3ELi1ELi1ELi1ELin1ELin1ELin1EEEvN5torch10headeronly6detail27GenericPackedTensorAccessorINS5_14TensorAccessorIN3c108ArrayRefIlEEKT_Lm4ENS4_16DefaultPtrTraitsEiEENS_6detail16IndexBoundsCheckILm5EiEESC_Lm5ESD_iEENS6_INS7_ISA_SB_Lm4ESD_iEESH_SB_Lm5ESD_iEESI_iiiiiiiii: ; @_ZN2at6native12_GLOBAL__N_143conv_depthwise3d_cuda_backward_input_kernelIffLi3ELi3ELi3ELi1ELi1ELi1ELin1ELin1ELin1EEEvN5torch10headeronly6detail27GenericPackedTensorAccessorINS5_14TensorAccessorIN3c108ArrayRefIlEEKT_Lm4ENS4_16DefaultPtrTraitsEiEENS_6detail16IndexBoundsCheckILm5EiEESC_Lm5ESD_iEENS6_INS7_ISA_SB_Lm4ESD_iEESH_SB_Lm5ESD_iEESI_iiiiiiiii
; %bb.0:
	s_mov_b64 s[102:103], s[2:3]
	s_mov_b64 s[100:101], s[0:1]
	s_clause 0x2
	s_load_dwordx4 s[44:47], s[4:5], 0x38
	s_load_dword s2, s[4:5], 0xc4
	s_load_dwordx2 s[60:61], s[4:5], 0x48
	s_add_u32 s100, s100, s7
	s_addc_u32 s101, s101, 0
                                        ; implicit-def: $vgpr127 : SGPR spill to VGPR lane
	s_waitcnt lgkmcnt(0)
	s_abs_i32 s74, s45
	s_add_u32 s0, s4, 0xb8
	v_cvt_f32_u32_e32 v1, s74
	s_addc_u32 s1, s5, 0
	s_and_b32 s2, s2, 0xffff
	v_rcp_iflag_f32_e32 v2, v1
	v_mov_b32_e32 v1, 0
	v_mad_u64_u32 v[0:1], null, s2, s6, v[0:1]
	s_mul_i32 s6, s61, s44
	v_mul_f32_e32 v2, 0x4f7ffffe, v2
	s_ashr_i32 s7, s6, 31
	v_writelane_b32 v127, s6, 0
	v_cmp_gt_i64_e32 vcc_lo, s[6:7], v[0:1]
	v_cvt_u32_f32_e32 v2, v2
	v_writelane_b32 v127, s7, 1
	v_readfirstlane_b32 s3, v2
	s_and_saveexec_b32 s6, vcc_lo
	s_cbranch_execz .LBB18_62
; %bb.1:
	s_clause 0x2
	s_load_dwordx2 s[8:9], s[4:5], 0xa0
	s_load_dwordx4 s[48:51], s[4:5], 0xc
	s_load_dwordx2 s[66:67], s[4:5], 0x0
	s_sub_i32 s6, 0, s74
	s_load_dword s0, s[0:1], 0x0
	s_mul_i32 s7, s6, s3
	s_clause 0x1
	s_load_dwordx4 s[52:55], s[4:5], 0x90
	s_load_dword s10, s[4:5], 0x7c
	s_mul_hi_u32 s7, s3, s7
	s_ashr_i32 s65, s45, 31
	s_add_i32 s3, s3, s7
	v_mul_lo_u32 v3, s6, v2
	s_clause 0x3
	s_load_dwordx2 s[68:69], s[4:5], 0x1c
	s_load_dwordx2 s[70:71], s[4:5], 0x30
	;; [unrolled: 1-line block ×3, first 2 shown]
	s_load_dwordx4 s[56:59], s[4:5], 0x50
	s_mov_b32 s76, 0
	v_mul_hi_u32 v3, v2, v3
	s_waitcnt lgkmcnt(0)
	v_writelane_b32 v127, s8, 2
	s_abs_i32 s7, s48
	s_mul_hi_u32 s1, s7, s3
	s_ashr_i32 s3, s48, 31
	v_writelane_b32 v127, s9, 3
	s_mul_i32 s8, s1, s74
	s_xor_b32 s3, s3, s65
	s_sub_i32 s7, s7, s8
	s_add_i32 s8, s1, 1
	s_sub_i32 s9, s7, s74
	s_cmp_ge_u32 s7, s74
	v_writelane_b32 v127, s10, 4
	s_cselect_b32 s1, s8, s1
	s_cselect_b32 s7, s9, s7
	s_add_i32 s8, s1, 1
	s_cmp_ge_u32 s7, s74
	s_mul_i32 s0, s0, s2
	s_cselect_b32 s1, s8, s1
	v_writelane_b32 v127, s0, 5
	s_xor_b32 s1, s1, s3
	v_add_nc_u32_e32 v2, v2, v3
	s_sub_i32 s77, s1, s3
	s_cmp_gt_i32 s77, 0
	s_cselect_b32 s0, -1, 0
	s_abs_i32 s80, s60
	s_abs_i32 s81, s47
	v_cvt_f32_u32_e32 v4, s80
	v_cvt_f32_u32_e32 v5, s81
	s_abs_i32 s82, s46
	s_abs_i32 s83, s52
	;; [unrolled: 1-line block ×3, first 2 shown]
	v_rcp_iflag_f32_e32 v4, v4
	s_abs_i32 s85, s54
	v_cvt_f32_u32_e32 v6, s82
	v_cvt_f32_u32_e32 v7, s83
	;; [unrolled: 1-line block ×4, first 2 shown]
	v_rcp_iflag_f32_e32 v5, v5
	v_rcp_iflag_f32_e32 v6, v6
	;; [unrolled: 1-line block ×5, first 2 shown]
	v_mul_f32_e32 v4, 0x4f7ffffe, v4
	v_writelane_b32 v127, s0, 6
	s_sub_i32 s0, 0, s80
	s_sub_i32 s1, 0, s81
	;; [unrolled: 1-line block ×3, first 2 shown]
	v_mul_f32_e32 v5, 0x4f7ffffe, v5
	v_cvt_u32_f32_e32 v4, v4
	v_mul_f32_e32 v6, 0x4f7ffffe, v6
	v_mul_f32_e32 v7, 0x4f7ffffe, v7
	;; [unrolled: 1-line block ×4, first 2 shown]
	v_cvt_u32_f32_e32 v5, v5
	v_mul_lo_u32 v10, s0, v4
	v_cvt_u32_f32_e32 v6, v6
	v_cvt_u32_f32_e32 v7, v7
	;; [unrolled: 1-line block ×3, first 2 shown]
	v_mul_lo_u32 v11, s1, v5
	v_cvt_u32_f32_e32 v9, v9
	s_sub_i32 s3, 0, s83
	s_sub_i32 s4, 0, s84
	;; [unrolled: 1-line block ×3, first 2 shown]
	v_mul_hi_u32 v10, v4, v10
	v_mul_lo_u32 v12, s2, v6
	v_mul_lo_u32 v13, s3, v7
	;; [unrolled: 1-line block ×4, first 2 shown]
	v_mul_hi_u32 v11, v5, v11
	s_ashr_i32 s0, s60, 31
	buffer_store_dword v2, off, s[100:103], 0 offset:12 ; 4-byte Folded Spill
	v_writelane_b32 v127, s0, 7
	v_add_nc_u32_e32 v4, v4, v10
	v_mul_hi_u32 v12, v6, v12
	v_mul_hi_u32 v13, v7, v13
	;; [unrolled: 1-line block ×4, first 2 shown]
	s_ashr_i32 s0, s47, 31
	buffer_store_dword v4, off, s[100:103], 0 ; 4-byte Folded Spill
	v_writelane_b32 v127, s0, 8
	v_add_nc_u32_e32 v4, v5, v11
	s_ashr_i32 s0, s46, 31
	v_add_nc_u32_e32 v2, v7, v13
	v_add_nc_u32_e32 v65, v8, v14
	v_writelane_b32 v127, s0, 9
	buffer_store_dword v4, off, s[100:103], 0 offset:4 ; 4-byte Folded Spill
	v_add_nc_u32_e32 v4, v6, v12
	v_add_nc_u32_e32 v66, v9, v15
	s_ashr_i32 s89, s52, 31
	s_ashr_i32 s90, s53, 31
	;; [unrolled: 1-line block ×3, first 2 shown]
	buffer_store_dword v4, off, s[100:103], 0 offset:8 ; 4-byte Folded Spill
	buffer_store_dword v2, off, s[100:103], 0 offset:16 ; 4-byte Folded Spill
	s_branch .LBB18_4
.LBB18_2:                               ;   in Loop: Header=BB18_4 Depth=1
	s_or_b32 exec_lo, exec_lo, s92
.LBB18_3:                               ;   in Loop: Header=BB18_4 Depth=1
	v_mul_lo_u32 v2, v70, s61
	v_mul_lo_u32 v4, s56, v71
	;; [unrolled: 1-line block ×3, first 2 shown]
	v_readlane_b32 s0, v127, 5
	v_mul_lo_u32 v8, s58, v68
	v_mul_lo_u32 v10, s59, v67
	v_add_co_u32 v0, vcc_lo, v0, s0
	v_ashrrev_i32_e32 v3, 31, v2
	v_ashrrev_i32_e32 v5, 31, v4
	v_ashrrev_i32_e32 v7, 31, v6
	v_add_co_ci_u32_e64 v1, null, 0, v1, vcc_lo
	v_lshlrev_b64 v[2:3], 2, v[2:3]
	v_lshlrev_b64 v[4:5], 2, v[4:5]
	v_ashrrev_i32_e32 v9, 31, v8
	v_ashrrev_i32_e32 v11, 31, v10
	v_readlane_b32 s0, v127, 0
	v_readlane_b32 s1, v127, 1
	v_add_co_u32 v12, vcc_lo, s70, v2
	v_add_co_ci_u32_e64 v13, null, s71, v3, vcc_lo
	v_lshlrev_b64 v[2:3], 2, v[6:7]
	v_add_co_u32 v6, vcc_lo, v12, v4
	v_add_co_ci_u32_e64 v7, null, v13, v5, vcc_lo
	v_lshlrev_b64 v[4:5], 2, v[8:9]
	;; [unrolled: 3-line block ×3, first 2 shown]
	v_add_co_u32 v4, vcc_lo, v6, v4
	v_add_co_ci_u32_e64 v5, null, v7, v5, vcc_lo
	v_cmp_le_i64_e32 vcc_lo, s[0:1], v[0:1]
	v_add_co_u32 v2, s0, v4, v2
	v_add_co_ci_u32_e64 v3, null, v5, v3, s0
	s_or_b32 s76, vcc_lo, s76
	global_store_dword v[2:3], v75, off
	s_andn2_b32 exec_lo, exec_lo, s76
	s_cbranch_execz .LBB18_62
.LBB18_4:                               ; =>This Loop Header: Depth=1
                                        ;     Child Loop BB18_7 Depth 2
	buffer_load_dword v3, off, s[100:103], 0 ; 4-byte Folded Reload
	v_sub_nc_u32_e32 v2, 0, v0
	v_readlane_b32 s0, v127, 7
	v_max_i32_e32 v2, v0, v2
	s_waitcnt vmcnt(0)
	v_mul_hi_u32 v3, v2, v3
	v_mul_lo_u32 v4, v3, s80
	v_sub_nc_u32_e32 v2, v2, v4
	v_add_nc_u32_e32 v4, 1, v3
	v_subrev_nc_u32_e32 v5, s80, v2
	v_cmp_le_u32_e32 vcc_lo, s80, v2
	v_cndmask_b32_e32 v3, v3, v4, vcc_lo
	v_cndmask_b32_e32 v2, v2, v5, vcc_lo
	v_ashrrev_i32_e32 v4, 31, v0
	v_add_nc_u32_e32 v5, 1, v3
	v_cmp_le_u32_e32 vcc_lo, s80, v2
	v_xor_b32_e32 v4, s0, v4
	v_readlane_b32 s0, v127, 8
	v_cndmask_b32_e32 v2, v3, v5, vcc_lo
	v_xor_b32_e32 v2, v2, v4
	v_sub_nc_u32_e32 v2, v2, v4
	buffer_load_dword v4, off, s[100:103], 0 offset:4 ; 4-byte Folded Reload
	v_sub_nc_u32_e32 v3, 0, v2
	v_max_i32_e32 v3, v2, v3
	s_waitcnt vmcnt(0)
	v_mul_hi_u32 v4, v3, v4
	v_mul_lo_u32 v5, v4, s81
	v_sub_nc_u32_e32 v3, v3, v5
	v_add_nc_u32_e32 v5, 1, v4
	v_subrev_nc_u32_e32 v6, s81, v3
	v_cmp_le_u32_e32 vcc_lo, s81, v3
	v_cndmask_b32_e32 v4, v4, v5, vcc_lo
	v_cndmask_b32_e32 v3, v3, v6, vcc_lo
	v_ashrrev_i32_e32 v5, 31, v2
	v_add_nc_u32_e32 v6, 1, v4
	v_cmp_le_u32_e32 vcc_lo, s81, v3
	v_xor_b32_e32 v5, s0, v5
	v_readlane_b32 s0, v127, 9
	v_cndmask_b32_e32 v3, v4, v6, vcc_lo
	v_xor_b32_e32 v3, v3, v5
	v_sub_nc_u32_e32 v3, v3, v5
	buffer_load_dword v5, off, s[100:103], 0 offset:8 ; 4-byte Folded Reload
	v_sub_nc_u32_e32 v4, 0, v3
	;; [unrolled: 20-line block ×3, first 2 shown]
	v_max_i32_e32 v5, v4, v5
	s_waitcnt vmcnt(0)
	v_mul_hi_u32 v6, v5, v6
	v_mul_lo_u32 v7, v6, s74
	v_sub_nc_u32_e32 v5, v5, v7
	v_add_nc_u32_e32 v7, 1, v6
	v_subrev_nc_u32_e32 v8, s74, v5
	v_cmp_le_u32_e32 vcc_lo, s74, v5
	v_cndmask_b32_e32 v6, v6, v7, vcc_lo
	v_cndmask_b32_e32 v5, v5, v8, vcc_lo
	v_ashrrev_i32_e32 v7, 31, v4
	v_add_nc_u32_e32 v8, 1, v6
	v_cmp_le_u32_e32 vcc_lo, s74, v5
	v_xor_b32_e32 v7, s65, v7
	v_cndmask_b32_e32 v5, v6, v8, vcc_lo
	v_mul_lo_u32 v6, v3, s47
	s_andn2_b32 vcc_lo, exec_lo, s0
	v_xor_b32_e32 v5, v5, v7
	v_sub_nc_u32_e32 v68, v2, v6
	v_sub_nc_u32_e32 v70, v5, v7
	v_mul_lo_u32 v5, v2, s60
	v_mul_lo_u32 v7, v4, s46
	;; [unrolled: 1-line block ×3, first 2 shown]
	v_sub_nc_u32_e32 v67, v0, v5
	v_sub_nc_u32_e32 v69, v3, v7
	;; [unrolled: 1-line block ×3, first 2 shown]
	s_cbranch_vccnz .LBB18_61
; %bb.5:                                ;   in Loop: Header=BB18_4 Depth=1
	v_readlane_b32 s2, v127, 2
	v_readlane_b32 s3, v127, 3
	v_mul_lo_u32 v72, v71, s77
	v_readlane_b32 s0, v127, 4
	buffer_load_dword v12, off, s[100:103], 0 offset:16 ; 4-byte Folded Reload
	v_mov_b32_e32 v75, 0
	v_add_nc_u32_e32 v4, s3, v67
	s_mov_b32 s92, 0
	v_mul_lo_u32 v2, s0, v72
	v_add_nc_u32_e32 v5, -1, v4
	v_sub_nc_u32_e32 v6, 1, v4
	v_add_nc_u32_e32 v76, s77, v72
	v_max_i32_e32 v6, v5, v6
	v_ashrrev_i32_e32 v3, 31, v2
	v_mul_hi_u32 v7, v6, v66
	v_lshlrev_b64 v[2:3], 2, v[2:3]
	v_add_co_u32 v2, vcc_lo, s72, v2
	v_mul_lo_u32 v8, v7, s85
	v_add_co_ci_u32_e64 v3, null, s73, v3, vcc_lo
	v_sub_nc_u32_e32 v6, v6, v8
	v_add_nc_u32_e32 v8, 1, v7
	v_cmp_le_u32_e32 vcc_lo, s85, v6
	v_cndmask_b32_e32 v7, v7, v8, vcc_lo
	v_subrev_nc_u32_e32 v8, s85, v6
	v_cndmask_b32_e32 v6, v6, v8, vcc_lo
	v_add_nc_u32_e32 v8, 1, v7
	v_cmp_le_u32_e32 vcc_lo, s85, v6
	v_cndmask_b32_e32 v6, v7, v8, vcc_lo
	v_ashrrev_i32_e32 v7, 31, v5
	v_xor_b32_e32 v7, s91, v7
	v_xor_b32_e32 v6, v6, v7
	v_sub_nc_u32_e32 v44, v6, v7
	v_mul_lo_u32 v6, v44, s54
	v_cmp_gt_i32_e64 s43, s51, v44
	v_cmp_eq_u32_e32 vcc_lo, v6, v5
	v_sub_nc_u32_e32 v5, 0, v4
	v_max_i32_e32 v5, v4, v5
	v_mul_hi_u32 v6, v5, v66
	v_mul_lo_u32 v7, v6, s85
	v_sub_nc_u32_e32 v5, v5, v7
	v_add_nc_u32_e32 v7, 1, v6
	v_cmp_le_u32_e64 s0, s85, v5
	v_cndmask_b32_e64 v6, v6, v7, s0
	v_subrev_nc_u32_e32 v7, s85, v5
	v_cndmask_b32_e64 v5, v5, v7, s0
	v_add_nc_u32_e32 v7, 1, v6
	v_cmp_le_u32_e64 s0, s85, v5
	v_cndmask_b32_e64 v5, v6, v7, s0
	v_ashrrev_i32_e32 v6, 31, v4
	v_xor_b32_e32 v6, s91, v6
	v_xor_b32_e32 v5, v5, v6
	v_sub_nc_u32_e32 v45, v5, v6
	v_mul_lo_u32 v5, v45, s54
	v_cmp_gt_i32_e64 s42, s51, v45
	v_cmp_eq_u32_e64 s0, v5, v4
	v_add_nc_u32_e32 v5, -2, v4
	v_sub_nc_u32_e32 v4, 2, v4
	v_max_i32_e32 v4, v5, v4
	v_mul_hi_u32 v6, v4, v66
	v_mul_lo_u32 v7, v6, s85
	v_sub_nc_u32_e32 v4, v4, v7
	v_add_nc_u32_e32 v7, 1, v6
	v_cmp_le_u32_e64 s1, s85, v4
	v_cndmask_b32_e64 v6, v6, v7, s1
	v_subrev_nc_u32_e32 v7, s85, v4
	v_cndmask_b32_e64 v4, v4, v7, s1
	v_add_nc_u32_e32 v7, 1, v6
	v_cmp_le_u32_e64 s1, s85, v4
	v_cndmask_b32_e64 v4, v6, v7, s1
	v_ashrrev_i32_e32 v6, 31, v5
	v_xor_b32_e32 v6, s91, v6
	v_xor_b32_e32 v4, v4, v6
	v_sub_nc_u32_e32 v46, v4, v6
	v_mul_lo_u32 v4, v46, s54
	v_cmp_gt_i32_e64 s44, s51, v46
	v_cmp_eq_u32_e64 s1, v4, v5
	v_add_nc_u32_e32 v5, s2, v68
	v_add_nc_u32_e32 v6, -1, v5
	v_sub_nc_u32_e32 v4, 1, v5
	v_max_i32_e32 v4, v6, v4
	v_mul_hi_u32 v7, v4, v65
	v_mul_lo_u32 v8, v7, s84
	v_sub_nc_u32_e32 v4, v4, v8
	v_add_nc_u32_e32 v8, 1, v7
	v_cmp_le_u32_e64 s2, s84, v4
	v_cndmask_b32_e64 v7, v7, v8, s2
	v_subrev_nc_u32_e32 v8, s84, v4
	v_cndmask_b32_e64 v4, v4, v8, s2
	v_add_nc_u32_e32 v8, 1, v7
	v_cmp_le_u32_e64 s2, s84, v4
	v_cndmask_b32_e64 v4, v7, v8, s2
	v_ashrrev_i32_e32 v7, 31, v6
	v_xor_b32_e32 v7, s90, v7
	v_xor_b32_e32 v4, v4, v7
	v_sub_nc_u32_e32 v4, v4, v7
	v_mul_lo_u32 v7, v4, s53
	v_or_b32_e32 v16, v45, v4
	v_or_b32_e32 v17, v44, v4
	;; [unrolled: 1-line block ×3, first 2 shown]
	v_cmp_gt_i32_e64 s40, s50, v4
	v_cmp_eq_u32_e64 s2, v7, v6
	v_sub_nc_u32_e32 v6, 0, v5
	s_and_b32 s79, s42, s40
	s_and_b32 s75, s43, s40
	;; [unrolled: 1-line block ×3, first 2 shown]
	v_max_i32_e32 v6, v5, v6
	v_mul_hi_u32 v7, v6, v65
	v_mul_lo_u32 v8, v7, s84
	v_sub_nc_u32_e32 v6, v6, v8
	v_add_nc_u32_e32 v8, 1, v7
	v_cmp_le_u32_e64 s3, s84, v6
	v_cndmask_b32_e64 v7, v7, v8, s3
	v_subrev_nc_u32_e32 v8, s84, v6
	v_cndmask_b32_e64 v6, v6, v8, s3
	v_add_nc_u32_e32 v8, 1, v7
	v_cmp_le_u32_e64 s3, s84, v6
	v_cndmask_b32_e64 v6, v7, v8, s3
	v_ashrrev_i32_e32 v7, 31, v5
	v_xor_b32_e32 v7, s90, v7
	v_xor_b32_e32 v6, v6, v7
	v_sub_nc_u32_e32 v6, v6, v7
	v_mul_lo_u32 v7, v6, s53
	v_or_b32_e32 v13, v45, v6
	v_or_b32_e32 v14, v44, v6
	;; [unrolled: 1-line block ×3, first 2 shown]
	v_cmp_gt_i32_e64 s39, s50, v6
	v_cmp_eq_u32_e64 s4, v7, v5
	v_add_nc_u32_e32 v7, -2, v5
	v_sub_nc_u32_e32 v5, 2, v5
	s_and_b32 s63, s42, s39
	s_and_b32 s64, s43, s39
	;; [unrolled: 1-line block ×3, first 2 shown]
	v_max_i32_e32 v5, v7, v5
	v_mul_hi_u32 v8, v5, v65
	v_mul_lo_u32 v9, v8, s84
	v_sub_nc_u32_e32 v5, v5, v9
	v_add_nc_u32_e32 v9, 1, v8
	v_cmp_le_u32_e64 s3, s84, v5
	v_cndmask_b32_e64 v8, v8, v9, s3
	v_subrev_nc_u32_e32 v9, s84, v5
	v_cndmask_b32_e64 v5, v5, v9, s3
	v_add_nc_u32_e32 v9, 1, v8
	v_cmp_le_u32_e64 s3, s84, v5
	v_cndmask_b32_e64 v5, v8, v9, s3
	v_ashrrev_i32_e32 v8, 31, v7
	v_add_nc_u32_e32 v9, s55, v69
	v_xor_b32_e32 v8, s90, v8
	v_xor_b32_e32 v5, v5, v8
	v_sub_nc_u32_e32 v5, v5, v8
	v_mul_lo_u32 v8, v5, s53
	v_cmp_gt_i32_e64 s41, s50, v5
	s_and_b32 s87, s42, s41
	s_and_b32 s88, s43, s41
	v_cmp_eq_u32_e64 s3, v8, v7
	v_add_nc_u32_e32 v8, -1, v9
	v_sub_nc_u32_e32 v7, 1, v9
	s_and_b32 s62, s44, s41
	v_max_i32_e32 v7, v8, v7
	s_waitcnt vmcnt(0)
	v_mul_hi_u32 v10, v7, v12
	v_mul_lo_u32 v11, v10, s83
	v_sub_nc_u32_e32 v7, v7, v11
	v_add_nc_u32_e32 v11, 1, v10
	v_cmp_le_u32_e64 s5, s83, v7
	v_cndmask_b32_e64 v10, v10, v11, s5
	v_subrev_nc_u32_e32 v11, s83, v7
	v_cndmask_b32_e64 v7, v7, v11, s5
	v_add_nc_u32_e32 v11, 1, v10
	v_cmp_le_u32_e64 s5, s83, v7
	v_cndmask_b32_e64 v7, v10, v11, s5
	v_ashrrev_i32_e32 v10, 31, v8
	v_xor_b32_e32 v10, s89, v10
	v_xor_b32_e32 v7, v7, v10
	v_sub_nc_u32_e32 v7, v7, v10
	v_mul_lo_u32 v10, v7, s52
	v_cmp_gt_i32_e64 s37, s49, v7
	v_cmp_eq_u32_e64 s20, v10, v8
	v_sub_nc_u32_e32 v8, 0, v9
	v_max_i32_e32 v8, v9, v8
	v_mul_hi_u32 v10, v8, v12
	v_mul_lo_u32 v11, v10, s83
	v_sub_nc_u32_e32 v8, v8, v11
	v_add_nc_u32_e32 v11, 1, v10
	v_cmp_le_u32_e64 s5, s83, v8
	v_cndmask_b32_e64 v10, v10, v11, s5
	v_subrev_nc_u32_e32 v11, s83, v8
	v_cndmask_b32_e64 v8, v8, v11, s5
	v_add_nc_u32_e32 v11, 1, v10
	v_cmp_le_u32_e64 s5, s83, v8
	v_cndmask_b32_e64 v8, v10, v11, s5
	v_ashrrev_i32_e32 v10, 31, v9
	v_xor_b32_e32 v10, s89, v10
	v_xor_b32_e32 v8, v8, v10
	v_sub_nc_u32_e32 v8, v8, v10
	v_mul_lo_u32 v10, v8, s52
	v_cmp_gt_i32_e64 s38, s49, v8
	v_cmp_eq_u32_e64 s11, v10, v9
	v_add_nc_u32_e32 v10, -2, v9
	v_sub_nc_u32_e32 v9, 2, v9
	s_and_b32 s48, s11, s4
	v_max_i32_e32 v9, v10, v9
	v_mul_hi_u32 v11, v9, v12
	v_mul_lo_u32 v12, v11, s83
	v_sub_nc_u32_e32 v9, v9, v12
	v_add_nc_u32_e32 v12, 1, v11
	v_cmp_le_u32_e64 s5, s83, v9
	v_cndmask_b32_e64 v11, v11, v12, s5
	v_subrev_nc_u32_e32 v12, s83, v9
	v_cndmask_b32_e64 v9, v9, v12, s5
	v_add_nc_u32_e32 v12, 1, v11
	v_cmp_le_u32_e64 s5, s83, v9
	v_cndmask_b32_e64 v9, v11, v12, s5
	v_ashrrev_i32_e32 v11, 31, v10
	v_xor_b32_e32 v11, s89, v11
	v_xor_b32_e32 v9, v9, v11
	v_sub_nc_u32_e32 v9, v9, v11
	v_mul_lo_u32 v11, v9, s52
	v_cmp_gt_i32_e64 s28, s49, v9
	v_cmp_eq_u32_e64 s23, v11, v10
	v_mul_lo_u32 v10, s68, v70
	v_ashrrev_i32_e32 v11, 31, v10
	v_lshlrev_b64 v[10:11], 2, v[10:11]
	v_add_co_u32 v73, s5, s66, v10
	v_or_b32_e32 v10, v13, v8
	v_add_co_ci_u32_e64 v74, null, s67, v11, s5
	v_cmp_lt_i32_e64 s7, -1, v10
	v_or_b32_e32 v10, v14, v8
	s_and_b32 s7, s63, s7
	v_cmp_lt_i32_e64 s5, -1, v10
	v_or_b32_e32 v10, v15, v8
	s_and_b32 s93, s7, s38
	s_and_b32 s7, s64, s5
	v_cmp_lt_i32_e64 s6, -1, v10
	v_or_b32_e32 v10, v16, v8
	s_and_b32 s94, s7, s38
	s_and_b32 s5, s48, s0
	;; [unrolled: 1-line block ×3, first 2 shown]
	v_cmp_lt_i32_e64 s10, -1, v10
	v_or_b32_e32 v10, v17, v8
	s_and_b32 s6, s48, vcc_lo
	s_and_b32 s39, s7, s38
	s_and_b32 s7, s48, s1
	;; [unrolled: 1-line block ×3, first 2 shown]
	v_cmp_lt_i32_e64 s8, -1, v10
	v_or_b32_e32 v10, v18, v8
	s_and_b32 s95, s10, s38
	s_and_b32 s48, s11, s2
	;; [unrolled: 1-line block ×3, first 2 shown]
	v_cmp_lt_i32_e64 s9, -1, v10
	v_or_b32_e32 v10, v45, v5
	s_and_b32 s96, s10, s38
	s_and_b32 s8, s48, s0
	;; [unrolled: 1-line block ×3, first 2 shown]
	v_or_b32_e32 v11, v10, v8
	s_and_b32 s9, s48, vcc_lo
	s_and_b32 s40, s10, s38
	s_and_b32 s10, s48, s1
	;; [unrolled: 1-line block ×3, first 2 shown]
	v_cmp_lt_i32_e64 s25, -1, v11
	v_or_b32_e32 v11, v44, v5
	s_and_b32 s11, s48, s0
	s_and_b32 s25, s87, s25
	v_or_b32_e32 v12, v11, v8
	s_and_b32 s42, s25, s38
	s_and_b32 s25, s20, s4
	v_cmp_lt_i32_e64 s12, -1, v12
	v_or_b32_e32 v12, v46, v5
	s_and_b32 s12, s88, s12
	v_or_b32_e32 v19, v12, v8
	v_mul_lo_u32 v8, v8, s50
	s_and_b32 s43, s12, s38
	s_and_b32 s12, s48, vcc_lo
	v_cmp_lt_i32_e64 s13, -1, v19
	v_or_b32_e32 v19, v13, v7
	v_or_b32_e32 v13, v13, v9
	s_and_b32 s13, s62, s13
	v_cmp_lt_i32_e64 s16, -1, v19
	v_or_b32_e32 v19, v14, v7
	v_cmp_lt_i32_e64 s35, -1, v13
	v_or_b32_e32 v13, v14, v9
	v_add_nc_u32_e32 v14, v4, v8
	s_and_b32 s16, s63, s16
	v_cmp_lt_i32_e64 s14, -1, v19
	v_or_b32_e32 v19, v15, v7
	v_cmp_lt_i32_e64 s36, -1, v13
	v_or_b32_e32 v13, v15, v9
	v_add_nc_u32_e32 v15, v5, v8
	v_mul_lo_u32 v14, v14, s51
	v_cmp_lt_i32_e64 s15, -1, v19
	v_or_b32_e32 v19, v16, v7
	v_cmp_lt_i32_e64 s24, -1, v13
	v_or_b32_e32 v13, v16, v9
	v_mul_lo_u32 v21, v15, s51
	s_and_b32 s41, s16, s37
	v_cmp_lt_i32_e64 s19, -1, v19
	v_or_b32_e32 v19, v17, v7
	v_cmp_lt_i32_e64 s26, -1, v13
	v_or_b32_e32 v13, v17, v9
	s_and_b32 s16, s64, s14
	s_and_b32 s19, s79, s19
	v_cmp_lt_i32_e64 s17, -1, v19
	v_or_b32_e32 v19, v18, v7
	v_cmp_lt_i32_e64 s27, -1, v13
	v_or_b32_e32 v13, v18, v9
	s_and_b32 s44, s16, s37
	s_and_b32 s16, s78, s15
	v_cmp_lt_i32_e64 s18, -1, v19
	v_or_b32_e32 v19, v10, v7
	v_or_b32_e32 v10, v10, v9
	v_cmp_lt_i32_e64 s29, -1, v13
	v_add_nc_u32_e32 v13, v6, v8
	s_and_b32 s98, s19, s37
	v_cmp_lt_i32_e64 s22, -1, v19
	v_or_b32_e32 v19, v11, v7
	v_or_b32_e32 v11, v11, v9
	v_mul_lo_u32 v8, v13, s51
	s_and_b32 s19, s75, s17
	v_cmp_lt_i32_e64 s30, -1, v10
	v_cmp_lt_i32_e64 s21, -1, v19
	v_or_b32_e32 v19, v12, v7
	v_or_b32_e32 v12, v12, v9
	v_mul_lo_u32 v9, v9, s50
	v_mul_lo_u32 v7, v7, s50
	v_add_nc_u32_e32 v10, v45, v14
	v_cmp_lt_i32_e64 s34, -1, v19
	v_cmp_lt_i32_e64 s33, -1, v12
	v_add_nc_u32_e32 v12, v44, v14
	v_add_nc_u32_e32 v14, v46, v14
	;; [unrolled: 1-line block ×9, first 2 shown]
	v_mul_lo_u32 v49, v38, s51
	v_mul_lo_u32 v47, v47, s51
	;; [unrolled: 1-line block ×6, first 2 shown]
	v_add_nc_u32_e32 v4, v45, v8
	v_add_nc_u32_e32 v6, v44, v8
	;; [unrolled: 1-line block ×12, first 2 shown]
	s_and_b32 s14, s25, s0
	v_add_nc_u32_e32 v24, v44, v27
	s_and_b32 s15, s25, vcc_lo
	s_and_b32 s97, s16, s37
	v_add_nc_u32_e32 v26, v46, v27
	s_and_b32 s16, s25, s1
	s_and_b32 s25, s20, s2
	v_add_nc_u32_e32 v28, v45, v33
	s_and_b32 s99, s19, s37
	v_add_nc_u32_e32 v30, v44, v33
	;; [unrolled: 2-line block ×4, first 2 shown]
	v_add_nc_u32_e32 v36, v44, v39
	v_add_nc_u32_e32 v38, v46, v39
	;; [unrolled: 1-line block ×5, first 2 shown]
	s_and_b32 s17, s25, s0
	s_and_b32 s18, s25, vcc_lo
	s_and_b32 s104, s19, s37
	s_and_b32 s19, s25, s1
	;; [unrolled: 1-line block ×3, first 2 shown]
	s_and_b32 vcc_hi, s22, s37
	s_and_b32 s21, s88, s21
	s_and_b32 s22, s62, s34
	;; [unrolled: 1-line block ×3, first 2 shown]
	v_ashrrev_i32_e32 v50, 31, v49
	v_ashrrev_i32_e32 v52, 31, v51
	;; [unrolled: 1-line block ×4, first 2 shown]
	s_and_b32 s38, s13, s38
	s_and_b32 s13, s48, s1
	;; [unrolled: 1-line block ×4, first 2 shown]
	s_and_b32 s21, s25, vcc_lo
	s_and_b32 s34, s22, s37
	s_and_b32 s22, s25, s1
	;; [unrolled: 1-line block ×10, first 2 shown]
	v_cmp_lt_i32_e64 s31, -1, v11
	v_ashrrev_i32_e32 v5, 31, v4
	v_ashrrev_i32_e32 v7, 31, v6
	;; [unrolled: 1-line block ×23, first 2 shown]
	s_and_b32 s4, s25, s0
	s_and_b32 s24, s25, vcc_lo
	s_and_b32 s25, s25, s1
	s_and_b32 s2, s63, s0
	;; [unrolled: 1-line block ×3, first 2 shown]
	s_and_b32 s26, s63, vcc_lo
	s_and_b32 s29, s27, s28
	s_and_b32 s27, s63, s1
	s_and_b32 s0, s3, s0
	s_and_b32 vcc_lo, s3, vcc_lo
	s_and_b32 s1, s3, s1
	s_mul_i32 s3, s69, s77
	v_lshlrev_b64 v[44:45], 2, v[49:50]
	v_lshlrev_b64 v[46:47], 2, v[51:52]
	;; [unrolled: 1-line block ×4, first 2 shown]
	v_mul_lo_u32 v58, s3, v71
	s_and_b32 s30, s87, s30
	v_lshlrev_b64 v[4:5], 2, v[4:5]
	v_lshlrev_b64 v[6:7], 2, v[6:7]
	;; [unrolled: 1-line block ×23, first 2 shown]
	s_and_b32 s36, s64, s36
	s_and_b32 s23, s30, s28
	;; [unrolled: 1-line block ×9, first 2 shown]
	s_branch .LBB18_7
.LBB18_6:                               ;   in Loop: Header=BB18_7 Depth=2
	s_or_b32 exec_lo, exec_lo, s31
	s_waitcnt vmcnt(26)
	v_fma_f32 v59, v77, v59, v75
	v_add_nc_u32_e32 v72, 1, v72
	v_add_co_u32 v2, s3, 0x6c, v2
	v_add_co_ci_u32_e64 v3, null, 0, v3, s3
	v_cndmask_b32_e64 v59, v75, v59, s5
	v_cmp_ge_i32_e64 s3, v72, v76
	v_add_nc_u32_e32 v58, s69, v58
	s_waitcnt vmcnt(25)
	v_fma_f32 v75, v80, v82, v59
	s_or_b32 s92, s3, s92
	v_cndmask_b32_e64 v59, v59, v75, s6
	s_waitcnt vmcnt(24)
	v_fma_f32 v75, v83, v81, v59
	v_cndmask_b32_e64 v59, v59, v75, s7
	s_waitcnt vmcnt(23)
	v_fma_f32 v75, v84, v86, v59
	;; [unrolled: 3-line block ×24, first 2 shown]
	v_cndmask_b32_e32 v59, v59, v60, vcc_lo
	s_waitcnt vmcnt(0)
	v_fma_f32 v60, v64, v62, v59
	v_cndmask_b32_e64 v75, v59, v60, s1
	s_andn2_b32 exec_lo, exec_lo, s92
	s_cbranch_execz .LBB18_2
.LBB18_7:                               ;   Parent Loop BB18_4 Depth=1
                                        ; =>  This Inner Loop Header: Depth=2
	global_load_dword v77, v[2:3], off
	v_ashrrev_i32_e32 v59, 31, v58
	v_lshlrev_b64 v[59:60], 2, v[58:59]
	v_add_co_u32 v78, s3, v73, v59
	v_add_co_ci_u32_e64 v79, null, v74, v60, s3
	v_mov_b32_e32 v59, 0
	s_and_saveexec_b32 s31, s93
	s_cbranch_execz .LBB18_9
; %bb.8:                                ;   in Loop: Header=BB18_7 Depth=2
	v_add_co_u32 v59, s3, v78, v4
	v_add_co_ci_u32_e64 v60, null, v79, v5, s3
	global_load_dword v59, v[59:60], off
.LBB18_9:                               ;   in Loop: Header=BB18_7 Depth=2
	s_or_b32 exec_lo, exec_lo, s31
	global_load_dword v80, v[2:3], off offset:4
	v_mov_b32_e32 v81, 0
	v_mov_b32_e32 v82, 0
	s_and_saveexec_b32 s31, s94
	s_cbranch_execz .LBB18_11
; %bb.10:                               ;   in Loop: Header=BB18_7 Depth=2
	v_add_co_u32 v60, s3, v78, v6
	v_add_co_ci_u32_e64 v61, null, v79, v7, s3
	global_load_dword v82, v[60:61], off
.LBB18_11:                              ;   in Loop: Header=BB18_7 Depth=2
	s_or_b32 exec_lo, exec_lo, s31
	global_load_dword v83, v[2:3], off offset:8
	s_and_saveexec_b32 s31, s39
	s_cbranch_execz .LBB18_13
; %bb.12:                               ;   in Loop: Header=BB18_7 Depth=2
	v_add_co_u32 v60, s3, v78, v8
	v_add_co_ci_u32_e64 v61, null, v79, v9, s3
	global_load_dword v81, v[60:61], off
.LBB18_13:                              ;   in Loop: Header=BB18_7 Depth=2
	s_or_b32 exec_lo, exec_lo, s31
	global_load_dword v84, v[2:3], off offset:12
	v_mov_b32_e32 v85, 0
	v_mov_b32_e32 v86, 0
	s_and_saveexec_b32 s31, s95
	s_cbranch_execz .LBB18_15
; %bb.14:                               ;   in Loop: Header=BB18_7 Depth=2
	v_add_co_u32 v60, s3, v78, v10
	v_add_co_ci_u32_e64 v61, null, v79, v11, s3
	global_load_dword v86, v[60:61], off
.LBB18_15:                              ;   in Loop: Header=BB18_7 Depth=2
	s_or_b32 exec_lo, exec_lo, s31
	global_load_dword v87, v[2:3], off offset:16
	s_and_saveexec_b32 s31, s96
	s_cbranch_execz .LBB18_17
; %bb.16:                               ;   in Loop: Header=BB18_7 Depth=2
	v_add_co_u32 v60, s3, v78, v12
	v_add_co_ci_u32_e64 v61, null, v79, v13, s3
	global_load_dword v85, v[60:61], off
.LBB18_17:                              ;   in Loop: Header=BB18_7 Depth=2
	;; [unrolled: 20-line block ×7, first 2 shown]
	s_or_b32 exec_lo, exec_lo, s31
	global_load_dword v108, v[2:3], off offset:60
	v_mov_b32_e32 v109, 0
	v_mov_b32_e32 v110, 0
	s_and_saveexec_b32 s31, vcc_hi
	s_cbranch_execz .LBB18_39
; %bb.38:                               ;   in Loop: Header=BB18_7 Depth=2
	v_add_co_u32 v60, s3, v78, v34
	v_add_co_ci_u32_e64 v61, null, v79, v35, s3
	global_load_dword v110, v[60:61], off
.LBB18_39:                              ;   in Loop: Header=BB18_7 Depth=2
	s_or_b32 exec_lo, exec_lo, s31
	global_load_dword v111, v[2:3], off offset:64
	s_and_saveexec_b32 s31, s48
	s_cbranch_execz .LBB18_41
; %bb.40:                               ;   in Loop: Header=BB18_7 Depth=2
	v_add_co_u32 v60, s3, v78, v36
	v_add_co_ci_u32_e64 v61, null, v79, v37, s3
	global_load_dword v109, v[60:61], off
.LBB18_41:                              ;   in Loop: Header=BB18_7 Depth=2
	s_or_b32 exec_lo, exec_lo, s31
	global_load_dword v112, v[2:3], off offset:68
	v_mov_b32_e32 v113, 0
	v_mov_b32_e32 v114, 0
	s_and_saveexec_b32 s31, s34
	s_cbranch_execz .LBB18_43
; %bb.42:                               ;   in Loop: Header=BB18_7 Depth=2
	v_add_co_u32 v60, s3, v78, v38
	v_add_co_ci_u32_e64 v61, null, v79, v39, s3
	global_load_dword v114, v[60:61], off
.LBB18_43:                              ;   in Loop: Header=BB18_7 Depth=2
	s_or_b32 exec_lo, exec_lo, s31
	global_load_dword v115, v[2:3], off offset:72
	s_and_saveexec_b32 s31, s35
	s_cbranch_execz .LBB18_45
; %bb.44:                               ;   in Loop: Header=BB18_7 Depth=2
	v_add_co_u32 v60, s3, v78, v40
	v_add_co_ci_u32_e64 v61, null, v79, v41, s3
	global_load_dword v113, v[60:61], off
.LBB18_45:                              ;   in Loop: Header=BB18_7 Depth=2
	s_or_b32 exec_lo, exec_lo, s31
	global_load_dword v116, v[2:3], off offset:76
	v_mov_b32_e32 v117, 0
	v_mov_b32_e32 v118, 0
	s_and_saveexec_b32 s31, s36
	;; [unrolled: 20-line block ×5, first 2 shown]
	s_cbranch_execz .LBB18_59
; %bb.58:                               ;   in Loop: Header=BB18_7 Depth=2
	v_add_co_u32 v63, s3, v78, v54
	v_add_co_ci_u32_e64 v64, null, v79, v55, s3
	global_load_dword v63, v[63:64], off
.LBB18_59:                              ;   in Loop: Header=BB18_7 Depth=2
	s_or_b32 exec_lo, exec_lo, s31
	global_load_dword v64, v[2:3], off offset:104
	s_and_saveexec_b32 s31, s28
	s_cbranch_execz .LBB18_6
; %bb.60:                               ;   in Loop: Header=BB18_7 Depth=2
	v_add_co_u32 v78, s3, v78, v56
	v_add_co_ci_u32_e64 v79, null, v79, v57, s3
	global_load_dword v62, v[78:79], off
	s_branch .LBB18_6
.LBB18_61:                              ;   in Loop: Header=BB18_4 Depth=1
	v_mov_b32_e32 v75, 0
	s_branch .LBB18_3
.LBB18_62:
	s_endpgm
	.section	.rodata,"a",@progbits
	.p2align	6, 0x0
	.amdhsa_kernel _ZN2at6native12_GLOBAL__N_143conv_depthwise3d_cuda_backward_input_kernelIffLi3ELi3ELi3ELi1ELi1ELi1ELin1ELin1ELin1EEEvN5torch10headeronly6detail27GenericPackedTensorAccessorINS5_14TensorAccessorIN3c108ArrayRefIlEEKT_Lm4ENS4_16DefaultPtrTraitsEiEENS_6detail16IndexBoundsCheckILm5EiEESC_Lm5ESD_iEENS6_INS7_ISA_SB_Lm4ESD_iEESH_SB_Lm5ESD_iEESI_iiiiiiiii
		.amdhsa_group_segment_fixed_size 0
		.amdhsa_private_segment_fixed_size 24
		.amdhsa_kernarg_size 440
		.amdhsa_user_sgpr_count 6
		.amdhsa_user_sgpr_private_segment_buffer 1
		.amdhsa_user_sgpr_dispatch_ptr 0
		.amdhsa_user_sgpr_queue_ptr 0
		.amdhsa_user_sgpr_kernarg_segment_ptr 1
		.amdhsa_user_sgpr_dispatch_id 0
		.amdhsa_user_sgpr_flat_scratch_init 0
		.amdhsa_user_sgpr_private_segment_size 0
		.amdhsa_wavefront_size32 1
		.amdhsa_uses_dynamic_stack 0
		.amdhsa_system_sgpr_private_segment_wavefront_offset 1
		.amdhsa_system_sgpr_workgroup_id_x 1
		.amdhsa_system_sgpr_workgroup_id_y 0
		.amdhsa_system_sgpr_workgroup_id_z 0
		.amdhsa_system_sgpr_workgroup_info 0
		.amdhsa_system_vgpr_workitem_id 0
		.amdhsa_next_free_vgpr 128
		.amdhsa_next_free_sgpr 105
		.amdhsa_reserve_vcc 1
		.amdhsa_reserve_flat_scratch 0
		.amdhsa_float_round_mode_32 0
		.amdhsa_float_round_mode_16_64 0
		.amdhsa_float_denorm_mode_32 3
		.amdhsa_float_denorm_mode_16_64 3
		.amdhsa_dx10_clamp 1
		.amdhsa_ieee_mode 1
		.amdhsa_fp16_overflow 0
		.amdhsa_workgroup_processor_mode 1
		.amdhsa_memory_ordered 1
		.amdhsa_forward_progress 1
		.amdhsa_shared_vgpr_count 0
		.amdhsa_exception_fp_ieee_invalid_op 0
		.amdhsa_exception_fp_denorm_src 0
		.amdhsa_exception_fp_ieee_div_zero 0
		.amdhsa_exception_fp_ieee_overflow 0
		.amdhsa_exception_fp_ieee_underflow 0
		.amdhsa_exception_fp_ieee_inexact 0
		.amdhsa_exception_int_div_zero 0
	.end_amdhsa_kernel
	.section	.text._ZN2at6native12_GLOBAL__N_143conv_depthwise3d_cuda_backward_input_kernelIffLi3ELi3ELi3ELi1ELi1ELi1ELin1ELin1ELin1EEEvN5torch10headeronly6detail27GenericPackedTensorAccessorINS5_14TensorAccessorIN3c108ArrayRefIlEEKT_Lm4ENS4_16DefaultPtrTraitsEiEENS_6detail16IndexBoundsCheckILm5EiEESC_Lm5ESD_iEENS6_INS7_ISA_SB_Lm4ESD_iEESH_SB_Lm5ESD_iEESI_iiiiiiiii,"axG",@progbits,_ZN2at6native12_GLOBAL__N_143conv_depthwise3d_cuda_backward_input_kernelIffLi3ELi3ELi3ELi1ELi1ELi1ELin1ELin1ELin1EEEvN5torch10headeronly6detail27GenericPackedTensorAccessorINS5_14TensorAccessorIN3c108ArrayRefIlEEKT_Lm4ENS4_16DefaultPtrTraitsEiEENS_6detail16IndexBoundsCheckILm5EiEESC_Lm5ESD_iEENS6_INS7_ISA_SB_Lm4ESD_iEESH_SB_Lm5ESD_iEESI_iiiiiiiii,comdat
.Lfunc_end18:
	.size	_ZN2at6native12_GLOBAL__N_143conv_depthwise3d_cuda_backward_input_kernelIffLi3ELi3ELi3ELi1ELi1ELi1ELin1ELin1ELin1EEEvN5torch10headeronly6detail27GenericPackedTensorAccessorINS5_14TensorAccessorIN3c108ArrayRefIlEEKT_Lm4ENS4_16DefaultPtrTraitsEiEENS_6detail16IndexBoundsCheckILm5EiEESC_Lm5ESD_iEENS6_INS7_ISA_SB_Lm4ESD_iEESH_SB_Lm5ESD_iEESI_iiiiiiiii, .Lfunc_end18-_ZN2at6native12_GLOBAL__N_143conv_depthwise3d_cuda_backward_input_kernelIffLi3ELi3ELi3ELi1ELi1ELi1ELin1ELin1ELin1EEEvN5torch10headeronly6detail27GenericPackedTensorAccessorINS5_14TensorAccessorIN3c108ArrayRefIlEEKT_Lm4ENS4_16DefaultPtrTraitsEiEENS_6detail16IndexBoundsCheckILm5EiEESC_Lm5ESD_iEENS6_INS7_ISA_SB_Lm4ESD_iEESH_SB_Lm5ESD_iEESI_iiiiiiiii
                                        ; -- End function
	.set _ZN2at6native12_GLOBAL__N_143conv_depthwise3d_cuda_backward_input_kernelIffLi3ELi3ELi3ELi1ELi1ELi1ELin1ELin1ELin1EEEvN5torch10headeronly6detail27GenericPackedTensorAccessorINS5_14TensorAccessorIN3c108ArrayRefIlEEKT_Lm4ENS4_16DefaultPtrTraitsEiEENS_6detail16IndexBoundsCheckILm5EiEESC_Lm5ESD_iEENS6_INS7_ISA_SB_Lm4ESD_iEESH_SB_Lm5ESD_iEESI_iiiiiiiii.num_vgpr, 128
	.set _ZN2at6native12_GLOBAL__N_143conv_depthwise3d_cuda_backward_input_kernelIffLi3ELi3ELi3ELi1ELi1ELi1ELin1ELin1ELin1EEEvN5torch10headeronly6detail27GenericPackedTensorAccessorINS5_14TensorAccessorIN3c108ArrayRefIlEEKT_Lm4ENS4_16DefaultPtrTraitsEiEENS_6detail16IndexBoundsCheckILm5EiEESC_Lm5ESD_iEENS6_INS7_ISA_SB_Lm4ESD_iEESH_SB_Lm5ESD_iEESI_iiiiiiiii.num_agpr, 0
	.set _ZN2at6native12_GLOBAL__N_143conv_depthwise3d_cuda_backward_input_kernelIffLi3ELi3ELi3ELi1ELi1ELi1ELin1ELin1ELin1EEEvN5torch10headeronly6detail27GenericPackedTensorAccessorINS5_14TensorAccessorIN3c108ArrayRefIlEEKT_Lm4ENS4_16DefaultPtrTraitsEiEENS_6detail16IndexBoundsCheckILm5EiEESC_Lm5ESD_iEENS6_INS7_ISA_SB_Lm4ESD_iEESH_SB_Lm5ESD_iEESI_iiiiiiiii.numbered_sgpr, 105
	.set _ZN2at6native12_GLOBAL__N_143conv_depthwise3d_cuda_backward_input_kernelIffLi3ELi3ELi3ELi1ELi1ELi1ELin1ELin1ELin1EEEvN5torch10headeronly6detail27GenericPackedTensorAccessorINS5_14TensorAccessorIN3c108ArrayRefIlEEKT_Lm4ENS4_16DefaultPtrTraitsEiEENS_6detail16IndexBoundsCheckILm5EiEESC_Lm5ESD_iEENS6_INS7_ISA_SB_Lm4ESD_iEESH_SB_Lm5ESD_iEESI_iiiiiiiii.num_named_barrier, 0
	.set _ZN2at6native12_GLOBAL__N_143conv_depthwise3d_cuda_backward_input_kernelIffLi3ELi3ELi3ELi1ELi1ELi1ELin1ELin1ELin1EEEvN5torch10headeronly6detail27GenericPackedTensorAccessorINS5_14TensorAccessorIN3c108ArrayRefIlEEKT_Lm4ENS4_16DefaultPtrTraitsEiEENS_6detail16IndexBoundsCheckILm5EiEESC_Lm5ESD_iEENS6_INS7_ISA_SB_Lm4ESD_iEESH_SB_Lm5ESD_iEESI_iiiiiiiii.private_seg_size, 24
	.set _ZN2at6native12_GLOBAL__N_143conv_depthwise3d_cuda_backward_input_kernelIffLi3ELi3ELi3ELi1ELi1ELi1ELin1ELin1ELin1EEEvN5torch10headeronly6detail27GenericPackedTensorAccessorINS5_14TensorAccessorIN3c108ArrayRefIlEEKT_Lm4ENS4_16DefaultPtrTraitsEiEENS_6detail16IndexBoundsCheckILm5EiEESC_Lm5ESD_iEENS6_INS7_ISA_SB_Lm4ESD_iEESH_SB_Lm5ESD_iEESI_iiiiiiiii.uses_vcc, 1
	.set _ZN2at6native12_GLOBAL__N_143conv_depthwise3d_cuda_backward_input_kernelIffLi3ELi3ELi3ELi1ELi1ELi1ELin1ELin1ELin1EEEvN5torch10headeronly6detail27GenericPackedTensorAccessorINS5_14TensorAccessorIN3c108ArrayRefIlEEKT_Lm4ENS4_16DefaultPtrTraitsEiEENS_6detail16IndexBoundsCheckILm5EiEESC_Lm5ESD_iEENS6_INS7_ISA_SB_Lm4ESD_iEESH_SB_Lm5ESD_iEESI_iiiiiiiii.uses_flat_scratch, 0
	.set _ZN2at6native12_GLOBAL__N_143conv_depthwise3d_cuda_backward_input_kernelIffLi3ELi3ELi3ELi1ELi1ELi1ELin1ELin1ELin1EEEvN5torch10headeronly6detail27GenericPackedTensorAccessorINS5_14TensorAccessorIN3c108ArrayRefIlEEKT_Lm4ENS4_16DefaultPtrTraitsEiEENS_6detail16IndexBoundsCheckILm5EiEESC_Lm5ESD_iEENS6_INS7_ISA_SB_Lm4ESD_iEESH_SB_Lm5ESD_iEESI_iiiiiiiii.has_dyn_sized_stack, 0
	.set _ZN2at6native12_GLOBAL__N_143conv_depthwise3d_cuda_backward_input_kernelIffLi3ELi3ELi3ELi1ELi1ELi1ELin1ELin1ELin1EEEvN5torch10headeronly6detail27GenericPackedTensorAccessorINS5_14TensorAccessorIN3c108ArrayRefIlEEKT_Lm4ENS4_16DefaultPtrTraitsEiEENS_6detail16IndexBoundsCheckILm5EiEESC_Lm5ESD_iEENS6_INS7_ISA_SB_Lm4ESD_iEESH_SB_Lm5ESD_iEESI_iiiiiiiii.has_recursion, 0
	.set _ZN2at6native12_GLOBAL__N_143conv_depthwise3d_cuda_backward_input_kernelIffLi3ELi3ELi3ELi1ELi1ELi1ELin1ELin1ELin1EEEvN5torch10headeronly6detail27GenericPackedTensorAccessorINS5_14TensorAccessorIN3c108ArrayRefIlEEKT_Lm4ENS4_16DefaultPtrTraitsEiEENS_6detail16IndexBoundsCheckILm5EiEESC_Lm5ESD_iEENS6_INS7_ISA_SB_Lm4ESD_iEESH_SB_Lm5ESD_iEESI_iiiiiiiii.has_indirect_call, 0
	.section	.AMDGPU.csdata,"",@progbits
; Kernel info:
; codeLenInByte = 5948
; TotalNumSgprs: 107
; NumVgprs: 128
; ScratchSize: 24
; MemoryBound: 0
; FloatMode: 240
; IeeeMode: 1
; LDSByteSize: 0 bytes/workgroup (compile time only)
; SGPRBlocks: 0
; VGPRBlocks: 15
; NumSGPRsForWavesPerEU: 107
; NumVGPRsForWavesPerEU: 128
; Occupancy: 8
; WaveLimiterHint : 0
; COMPUTE_PGM_RSRC2:SCRATCH_EN: 1
; COMPUTE_PGM_RSRC2:USER_SGPR: 6
; COMPUTE_PGM_RSRC2:TRAP_HANDLER: 0
; COMPUTE_PGM_RSRC2:TGID_X_EN: 1
; COMPUTE_PGM_RSRC2:TGID_Y_EN: 0
; COMPUTE_PGM_RSRC2:TGID_Z_EN: 0
; COMPUTE_PGM_RSRC2:TIDIG_COMP_CNT: 0
	.section	.text._ZN2at6native12_GLOBAL__N_143conv_depthwise3d_cuda_backward_input_kernelIffLi3ELi3ELi3ELin1ELin1ELin1ELi1ELi1ELi1EEEvN5torch10headeronly6detail27GenericPackedTensorAccessorINS5_14TensorAccessorIN3c108ArrayRefIlEEKT_Lm4ENS4_16DefaultPtrTraitsEiEENS_6detail16IndexBoundsCheckILm5EiEESC_Lm5ESD_iEENS6_INS7_ISA_SB_Lm4ESD_iEESH_SB_Lm5ESD_iEESI_iiiiiiiii,"axG",@progbits,_ZN2at6native12_GLOBAL__N_143conv_depthwise3d_cuda_backward_input_kernelIffLi3ELi3ELi3ELin1ELin1ELin1ELi1ELi1ELi1EEEvN5torch10headeronly6detail27GenericPackedTensorAccessorINS5_14TensorAccessorIN3c108ArrayRefIlEEKT_Lm4ENS4_16DefaultPtrTraitsEiEENS_6detail16IndexBoundsCheckILm5EiEESC_Lm5ESD_iEENS6_INS7_ISA_SB_Lm4ESD_iEESH_SB_Lm5ESD_iEESI_iiiiiiiii,comdat
	.globl	_ZN2at6native12_GLOBAL__N_143conv_depthwise3d_cuda_backward_input_kernelIffLi3ELi3ELi3ELin1ELin1ELin1ELi1ELi1ELi1EEEvN5torch10headeronly6detail27GenericPackedTensorAccessorINS5_14TensorAccessorIN3c108ArrayRefIlEEKT_Lm4ENS4_16DefaultPtrTraitsEiEENS_6detail16IndexBoundsCheckILm5EiEESC_Lm5ESD_iEENS6_INS7_ISA_SB_Lm4ESD_iEESH_SB_Lm5ESD_iEESI_iiiiiiiii ; -- Begin function _ZN2at6native12_GLOBAL__N_143conv_depthwise3d_cuda_backward_input_kernelIffLi3ELi3ELi3ELin1ELin1ELin1ELi1ELi1ELi1EEEvN5torch10headeronly6detail27GenericPackedTensorAccessorINS5_14TensorAccessorIN3c108ArrayRefIlEEKT_Lm4ENS4_16DefaultPtrTraitsEiEENS_6detail16IndexBoundsCheckILm5EiEESC_Lm5ESD_iEENS6_INS7_ISA_SB_Lm4ESD_iEESH_SB_Lm5ESD_iEESI_iiiiiiiii
	.p2align	8
	.type	_ZN2at6native12_GLOBAL__N_143conv_depthwise3d_cuda_backward_input_kernelIffLi3ELi3ELi3ELin1ELin1ELin1ELi1ELi1ELi1EEEvN5torch10headeronly6detail27GenericPackedTensorAccessorINS5_14TensorAccessorIN3c108ArrayRefIlEEKT_Lm4ENS4_16DefaultPtrTraitsEiEENS_6detail16IndexBoundsCheckILm5EiEESC_Lm5ESD_iEENS6_INS7_ISA_SB_Lm4ESD_iEESH_SB_Lm5ESD_iEESI_iiiiiiiii,@function
_ZN2at6native12_GLOBAL__N_143conv_depthwise3d_cuda_backward_input_kernelIffLi3ELi3ELi3ELin1ELin1ELin1ELi1ELi1ELi1EEEvN5torch10headeronly6detail27GenericPackedTensorAccessorINS5_14TensorAccessorIN3c108ArrayRefIlEEKT_Lm4ENS4_16DefaultPtrTraitsEiEENS_6detail16IndexBoundsCheckILm5EiEESC_Lm5ESD_iEENS6_INS7_ISA_SB_Lm4ESD_iEESH_SB_Lm5ESD_iEESI_iiiiiiiii: ; @_ZN2at6native12_GLOBAL__N_143conv_depthwise3d_cuda_backward_input_kernelIffLi3ELi3ELi3ELin1ELin1ELin1ELi1ELi1ELi1EEEvN5torch10headeronly6detail27GenericPackedTensorAccessorINS5_14TensorAccessorIN3c108ArrayRefIlEEKT_Lm4ENS4_16DefaultPtrTraitsEiEENS_6detail16IndexBoundsCheckILm5EiEESC_Lm5ESD_iEENS6_INS7_ISA_SB_Lm4ESD_iEESH_SB_Lm5ESD_iEESI_iiiiiiiii
; %bb.0:
	s_mov_b64 s[82:83], s[2:3]
	s_mov_b64 s[80:81], s[0:1]
	s_clause 0x2
	s_load_dwordx4 s[8:11], s[4:5], 0x38
	s_load_dword s2, s[4:5], 0xc4
	s_load_dwordx2 s[24:25], s[4:5], 0x48
	s_add_u32 s80, s80, s7
	s_addc_u32 s81, s81, 0
	s_waitcnt lgkmcnt(0)
	s_abs_i32 s33, s9
	s_add_u32 s0, s4, 0xb8
	v_cvt_f32_u32_e32 v1, s33
	s_addc_u32 s1, s5, 0
	s_and_b32 s2, s2, 0xffff
	v_rcp_iflag_f32_e32 v2, v1
	v_mov_b32_e32 v1, 0
	v_mad_u64_u32 v[0:1], null, s2, s6, v[0:1]
	s_mul_i32 s6, s25, s8
	s_mov_b32 s8, exec_lo
	v_mul_f32_e32 v2, 0x4f7ffffe, v2
	s_ashr_i32 s7, s6, 31
	v_cvt_u32_f32_e32 v2, v2
	v_readfirstlane_b32 s3, v2
	v_cmpx_gt_i64_e64 s[6:7], v[0:1]
	s_cbranch_execz .LBB19_62
; %bb.1:
	s_clause 0x1
	s_load_dwordx4 s[12:15], s[4:5], 0xc
	s_load_dwordx2 s[26:27], s[4:5], 0x0
	s_sub_i32 s16, 0, s33
	s_load_dwordx2 s[28:29], s[4:5], 0xac
	s_load_dword s0, s[0:1], 0x0
	s_mul_i32 s8, s16, s3
	v_mul_lo_u32 v6, s16, v2
	s_mul_hi_u32 s8, s3, s8
	s_add_i32 s3, s3, s8
	s_ashr_i32 s8, s9, 31
	v_mul_hi_u32 v6, v2, v6
	s_waitcnt lgkmcnt(0)
	s_abs_i32 s17, s12
	s_ashr_i32 s12, s12, 31
	s_mul_hi_u32 s3, s17, s3
	s_xor_b32 s12, s12, s8
	s_mul_i32 s18, s3, s33
	v_add_nc_u32_e32 v2, v2, v6
	s_sub_i32 s17, s17, s18
	s_add_i32 s18, s3, 1
	s_sub_i32 s19, s17, s33
	s_cmp_ge_u32 s17, s33
	s_mul_i32 s43, s0, s2
	s_cselect_b32 s3, s18, s3
	s_cselect_b32 s17, s19, s17
	s_add_i32 s18, s3, 1
	s_cmp_ge_u32 s17, s33
	s_cselect_b32 s3, s18, s3
	s_clause 0x3
	s_load_dwordx4 s[16:19], s[4:5], 0x9c
	s_load_dword s42, s[4:5], 0x7c
	s_load_dwordx2 s[30:31], s[4:5], 0x1c
	s_load_dwordx2 s[34:35], s[4:5], 0x30
	s_xor_b32 s3, s3, s12
	s_sub_i32 s12, s3, s12
	s_cmp_gt_i32 s12, 0
	s_cselect_b32 s38, -1, 0
	s_abs_i32 s39, s24
	s_abs_i32 s40, s11
	;; [unrolled: 1-line block ×3, first 2 shown]
	v_cvt_f32_u32_e32 v3, s39
	v_cvt_f32_u32_e32 v4, s40
	;; [unrolled: 1-line block ×3, first 2 shown]
	s_sub_i32 s1, 0, s39
	s_sub_i32 s3, 0, s40
	v_rcp_iflag_f32_e32 v3, v3
	v_rcp_iflag_f32_e32 v4, v4
	;; [unrolled: 1-line block ×3, first 2 shown]
	s_sub_i32 s20, 0, s41
	s_lshl_b32 s44, s29, 1
	s_lshl_b32 s45, s28, 1
	s_waitcnt lgkmcnt(0)
	s_lshl_b32 s46, s19, 1
	s_ashr_i32 s47, s24, 31
	s_ashr_i32 s48, s11, 31
	;; [unrolled: 1-line block ×3, first 2 shown]
	v_mul_f32_e32 v3, 0x4f7ffffe, v3
	v_mul_f32_e32 v4, 0x4f7ffffe, v4
	;; [unrolled: 1-line block ×3, first 2 shown]
	s_mul_i32 s50, s31, s12
	v_cvt_u32_f32_e32 v3, v3
	v_cvt_u32_f32_e32 v4, v4
	;; [unrolled: 1-line block ×3, first 2 shown]
	v_mul_lo_u32 v7, s1, v3
	v_mul_lo_u32 v8, s3, v4
	v_mul_lo_u32 v9, s20, v5
	s_clause 0x1
	s_load_dwordx2 s[36:37], s[4:5], 0x60
	s_load_dwordx4 s[20:23], s[4:5], 0x50
	buffer_store_dword v2, off, s[80:83], 0 ; 4-byte Folded Spill
	s_mov_b32 s5, 0
	v_mul_hi_u32 v2, v3, v7
	v_mul_hi_u32 v6, v4, v8
	;; [unrolled: 1-line block ×3, first 2 shown]
	v_add_nc_u32_e32 v2, v3, v2
	v_add_nc_u32_e32 v62, v4, v6
	;; [unrolled: 1-line block ×3, first 2 shown]
	buffer_store_dword v2, off, s[80:83], 0 offset:4 ; 4-byte Folded Spill
	s_branch .LBB19_4
.LBB19_2:                               ;   in Loop: Header=BB19_4 Depth=1
	s_or_b32 exec_lo, exec_lo, s4
.LBB19_3:                               ;   in Loop: Header=BB19_4 Depth=1
	v_mul_lo_u32 v2, v67, s25
	s_waitcnt lgkmcnt(0)
	v_mul_lo_u32 v4, s20, v68
	v_mul_lo_u32 v6, s21, v66
	;; [unrolled: 1-line block ×3, first 2 shown]
	v_add_co_u32 v0, vcc_lo, v0, s43
	v_add_co_ci_u32_e64 v1, null, 0, v1, vcc_lo
	v_ashrrev_i32_e32 v3, 31, v2
	v_ashrrev_i32_e32 v5, 31, v4
	;; [unrolled: 1-line block ×3, first 2 shown]
	v_mul_lo_u32 v10, s23, v64
	v_ashrrev_i32_e32 v9, 31, v8
	v_lshlrev_b64 v[2:3], 2, v[2:3]
	v_lshlrev_b64 v[4:5], 2, v[4:5]
	v_ashrrev_i32_e32 v11, 31, v10
	v_add_co_u32 v12, vcc_lo, s34, v2
	v_add_co_ci_u32_e64 v13, null, s35, v3, vcc_lo
	v_lshlrev_b64 v[2:3], 2, v[6:7]
	v_add_co_u32 v6, vcc_lo, v12, v4
	v_add_co_ci_u32_e64 v7, null, v13, v5, vcc_lo
	v_lshlrev_b64 v[4:5], 2, v[8:9]
	;; [unrolled: 3-line block ×3, first 2 shown]
	v_add_co_u32 v4, vcc_lo, v6, v4
	v_add_co_ci_u32_e64 v5, null, v7, v5, vcc_lo
	v_cmp_le_i64_e32 vcc_lo, s[6:7], v[0:1]
	v_add_co_u32 v2, s0, v4, v2
	v_add_co_ci_u32_e64 v3, null, v5, v3, s0
	s_or_b32 s5, vcc_lo, s5
	global_store_dword v[2:3], v72, off
	s_andn2_b32 exec_lo, exec_lo, s5
	s_cbranch_execz .LBB19_62
.LBB19_4:                               ; =>This Loop Header: Depth=1
                                        ;     Child Loop BB19_7 Depth 2
	buffer_load_dword v3, off, s[80:83], 0 offset:4 ; 4-byte Folded Reload
	v_sub_nc_u32_e32 v2, 0, v0
	v_max_i32_e32 v2, v0, v2
	s_waitcnt vmcnt(0)
	v_mul_hi_u32 v3, v2, v3
	v_mul_lo_u32 v4, v3, s39
	v_sub_nc_u32_e32 v2, v2, v4
	v_add_nc_u32_e32 v4, 1, v3
	v_subrev_nc_u32_e32 v5, s39, v2
	v_cmp_le_u32_e32 vcc_lo, s39, v2
	v_cndmask_b32_e32 v3, v3, v4, vcc_lo
	v_cndmask_b32_e32 v2, v2, v5, vcc_lo
	v_ashrrev_i32_e32 v4, 31, v0
	v_add_nc_u32_e32 v5, 1, v3
	v_cmp_le_u32_e32 vcc_lo, s39, v2
	v_xor_b32_e32 v4, s47, v4
	v_cndmask_b32_e32 v2, v3, v5, vcc_lo
	v_xor_b32_e32 v2, v2, v4
	v_sub_nc_u32_e32 v2, v2, v4
	v_sub_nc_u32_e32 v3, 0, v2
	v_max_i32_e32 v3, v2, v3
	v_mul_hi_u32 v4, v3, v62
	v_mul_lo_u32 v5, v4, s40
	v_sub_nc_u32_e32 v3, v3, v5
	v_add_nc_u32_e32 v5, 1, v4
	v_subrev_nc_u32_e32 v6, s40, v3
	v_cmp_le_u32_e32 vcc_lo, s40, v3
	v_cndmask_b32_e32 v4, v4, v5, vcc_lo
	v_cndmask_b32_e32 v3, v3, v6, vcc_lo
	v_ashrrev_i32_e32 v5, 31, v2
	v_add_nc_u32_e32 v6, 1, v4
	v_cmp_le_u32_e32 vcc_lo, s40, v3
	v_xor_b32_e32 v5, s48, v5
	v_cndmask_b32_e32 v3, v4, v6, vcc_lo
	v_xor_b32_e32 v3, v3, v5
	v_sub_nc_u32_e32 v3, v3, v5
	v_sub_nc_u32_e32 v4, 0, v3
	v_max_i32_e32 v4, v3, v4
	v_mul_hi_u32 v5, v4, v63
	v_mul_lo_u32 v6, v5, s41
	v_sub_nc_u32_e32 v4, v4, v6
	v_add_nc_u32_e32 v6, 1, v5
	v_subrev_nc_u32_e32 v7, s41, v4
	v_cmp_le_u32_e32 vcc_lo, s41, v4
	v_cndmask_b32_e32 v5, v5, v6, vcc_lo
	v_cndmask_b32_e32 v4, v4, v7, vcc_lo
	v_ashrrev_i32_e32 v6, 31, v3
	v_add_nc_u32_e32 v7, 1, v5
	v_cmp_le_u32_e32 vcc_lo, s41, v4
	v_xor_b32_e32 v6, s49, v6
	v_cndmask_b32_e32 v4, v5, v7, vcc_lo
	v_xor_b32_e32 v4, v4, v6
	v_sub_nc_u32_e32 v4, v4, v6
	buffer_load_dword v6, off, s[80:83], 0  ; 4-byte Folded Reload
	v_sub_nc_u32_e32 v5, 0, v4
	v_max_i32_e32 v5, v4, v5
	s_waitcnt vmcnt(0)
	v_mul_hi_u32 v6, v5, v6
	v_mul_lo_u32 v7, v6, s33
	v_sub_nc_u32_e32 v5, v5, v7
	v_add_nc_u32_e32 v7, 1, v6
	v_subrev_nc_u32_e32 v8, s33, v5
	v_cmp_le_u32_e32 vcc_lo, s33, v5
	v_cndmask_b32_e32 v6, v6, v7, vcc_lo
	v_cndmask_b32_e32 v5, v5, v8, vcc_lo
	v_ashrrev_i32_e32 v7, 31, v4
	v_add_nc_u32_e32 v8, 1, v6
	v_cmp_le_u32_e32 vcc_lo, s33, v5
	v_xor_b32_e32 v7, s8, v7
	v_cndmask_b32_e32 v5, v6, v8, vcc_lo
	v_mul_lo_u32 v6, v3, s11
	s_andn2_b32 vcc_lo, exec_lo, s38
	v_xor_b32_e32 v5, v5, v7
	v_sub_nc_u32_e32 v65, v2, v6
	v_sub_nc_u32_e32 v67, v5, v7
	v_mul_lo_u32 v5, v2, s24
	v_mul_lo_u32 v7, v4, s10
	;; [unrolled: 1-line block ×3, first 2 shown]
	v_sub_nc_u32_e32 v64, v0, v5
	v_sub_nc_u32_e32 v66, v3, v7
	;; [unrolled: 1-line block ×3, first 2 shown]
	s_cbranch_vccnz .LBB19_61
; %bb.5:                                ;   in Loop: Header=BB19_4 Depth=1
	v_mul_lo_u32 v69, v68, s12
	v_mul_lo_u32 v2, s30, v67
	v_add_nc_u32_e32 v27, s16, v66
	v_add_nc_u32_e32 v23, s17, v65
	;; [unrolled: 1-line block ×3, first 2 shown]
	v_mul_lo_u32 v14, v27, s14
	v_mul_lo_u32 v4, s42, v69
	v_ashrrev_i32_e32 v3, 31, v2
	v_or_b32_e32 v6, v18, v23
	v_subrev_nc_u32_e32 v19, s29, v18
	v_cmp_gt_i32_e64 s0, s14, v23
	v_subrev_nc_u32_e32 v24, s46, v27
	v_lshlrev_b64 v[2:3], 2, v[2:3]
	v_add_nc_u32_e32 v7, v23, v14
	v_ashrrev_i32_e32 v5, 31, v4
	v_subrev_nc_u32_e32 v30, s19, v27
	v_cmp_gt_i32_e32 vcc_lo, s13, v27
	v_subrev_nc_u32_e32 v21, s44, v18
	v_add_co_u32 v70, s1, s26, v2
	v_lshlrev_b64 v[4:5], 2, v[4:5]
	v_add_co_ci_u32_e64 v71, null, s27, v3, s1
	v_mul_lo_u32 v8, v7, s15
	v_or_b32_e32 v7, v19, v23
	v_or_b32_e32 v25, v6, v24
	s_waitcnt lgkmcnt(0)
	v_add_co_u32 v2, s1, s36, v4
	v_or_b32_e32 v4, v6, v27
	v_add_co_ci_u32_e64 v3, null, s37, v5, s1
	v_cmp_gt_i32_e64 s1, s15, v18
	v_or_b32_e32 v29, v6, v30
	v_cmp_lt_i32_e64 s2, -1, v4
	v_or_b32_e32 v6, v7, v27
	v_or_b32_e32 v9, v21, v23
	s_and_b32 s69, s1, s0
	v_subrev_nc_u32_e32 v22, s28, v23
	s_and_b32 s2, s69, s2
	v_cmp_lt_i32_e64 s3, -1, v6
	s_and_b32 s51, s2, vcc_lo
	v_cmp_gt_i32_e64 s2, s15, v19
	v_or_b32_e32 v10, v9, v27
	v_or_b32_e32 v11, v18, v22
	;; [unrolled: 1-line block ×3, first 2 shown]
	v_add_nc_u32_e32 v12, v22, v14
	s_and_b32 s70, s2, s0
	v_cmp_lt_i32_e64 s4, -1, v10
	s_and_b32 s3, s70, s3
	v_or_b32_e32 v10, v11, v27
	s_and_b32 s52, s3, vcc_lo
	v_cmp_gt_i32_e64 s3, s15, v21
	v_mul_lo_u32 v16, v12, s15
	v_or_b32_e32 v12, v13, v27
	v_or_b32_e32 v15, v21, v22
	v_subrev_nc_u32_e32 v20, s45, v23
	s_and_b32 s71, s3, s0
	v_cmp_gt_i32_e64 s0, s14, v22
	s_and_b32 s4, s71, s4
	v_or_b32_e32 v35, v15, v27
	s_and_b32 s53, s4, vcc_lo
	v_cmp_lt_i32_e64 s4, -1, v10
	s_and_b32 s72, s1, s0
	s_and_b32 s73, s2, s0
	v_or_b32_e32 v17, v18, v20
	v_add_nc_u32_e32 v10, v18, v16
	s_and_b32 s4, s72, s4
	s_and_b32 s74, s3, s0
	s_and_b32 s54, s4, vcc_lo
	v_cmp_lt_i32_e64 s4, -1, v12
	v_add_nc_u32_e32 v12, v19, v16
	v_or_b32_e32 v28, v19, v20
	v_cmp_gt_i32_e64 s0, s14, v20
	v_or_b32_e32 v31, v21, v20
	s_and_b32 s4, s73, s4
	v_or_b32_e32 v32, v7, v30
	s_and_b32 s55, s4, vcc_lo
	v_cmp_lt_i32_e64 s4, -1, v35
	v_add_nc_u32_e32 v35, v20, v14
	v_add_nc_u32_e32 v14, v21, v16
	v_or_b32_e32 v16, v17, v27
	v_or_b32_e32 v36, v28, v27
	s_and_b32 s4, s74, s4
	s_and_b32 s75, s1, s0
	s_and_b32 s56, s4, vcc_lo
	v_cmp_lt_i32_e64 s4, -1, v16
	s_and_b32 s76, s2, s0
	s_and_b32 s77, s3, s0
	v_cmp_lt_i32_e64 s0, -1, v29
	v_or_b32_e32 v33, v9, v30
	s_and_b32 s1, s75, s4
	v_or_b32_e32 v34, v11, v30
	s_and_b32 s57, s1, vcc_lo
	v_cmp_lt_i32_e64 s1, -1, v36
	v_or_b32_e32 v36, v31, v27
	v_or_b32_e32 v38, v13, v30
	;; [unrolled: 1-line block ×3, first 2 shown]
	v_mul_lo_u32 v35, v35, s15
	s_and_b32 s1, s76, s1
	v_or_b32_e32 v42, v17, v30
	s_and_b32 s58, s1, vcc_lo
	v_cmp_lt_i32_e64 s1, -1, v36
	v_mul_lo_u32 v40, v30, s14
	v_mul_lo_u32 v53, v24, s14
	v_or_b32_e32 v43, v28, v30
	v_or_b32_e32 v44, v31, v30
	s_and_b32 s1, s77, s1
	v_or_b32_e32 v26, v7, v24
	s_and_b32 s59, s1, vcc_lo
	v_cmp_gt_i32_e32 vcc_lo, s13, v30
	s_and_b32 s1, s69, s0
	v_cmp_lt_i32_e64 s0, -1, v32
	v_cmp_lt_i32_e64 s2, -1, v44
	v_add_nc_u32_e32 v16, v18, v35
	s_and_b32 s60, s1, vcc_lo
	v_add_nc_u32_e32 v27, v19, v35
	s_and_b32 s1, s70, s0
	v_cmp_lt_i32_e64 s0, -1, v33
	s_and_b32 s61, s1, vcc_lo
	v_cmp_lt_i32_e64 s1, -1, v34
	v_add_nc_u32_e32 v37, v23, v40
	v_add_nc_u32_e32 v29, v21, v35
	s_and_b32 s0, s71, s0
	v_add_nc_u32_e32 v35, v22, v40
	s_and_b32 s62, s0, vcc_lo
	s_and_b32 s0, s72, s1
	v_cmp_lt_i32_e64 s1, -1, v39
	s_and_b32 s63, s0, vcc_lo
	v_cmp_lt_i32_e64 s0, -1, v38
	v_add_nc_u32_e32 v40, v20, v40
	v_add_nc_u32_e32 v22, v22, v53
	v_or_b32_e32 v49, v9, v24
	v_add_nc_u32_e32 v23, v23, v53
	s_and_b32 s0, s73, s0
	v_add_nc_u32_e32 v20, v20, v53
	s_and_b32 s64, s0, vcc_lo
	s_and_b32 s0, s74, s1
	v_cmp_lt_i32_e64 s1, -1, v43
	s_and_b32 s65, s0, vcc_lo
	v_cmp_lt_i32_e64 s0, -1, v42
	s_and_b32 s3, s77, s2
	v_cmp_lt_i32_e64 s2, -1, v26
	v_mul_lo_u32 v36, v37, s15
	v_mul_lo_u32 v41, v35, s15
	s_and_b32 s0, s75, s0
	v_mul_lo_u32 v46, v40, s15
	s_and_b32 s66, s0, vcc_lo
	s_and_b32 s0, s76, s1
	v_cmp_lt_i32_e64 s1, -1, v25
	v_mul_lo_u32 v22, v22, s15
	v_or_b32_e32 v50, v11, v24
	s_and_b32 s67, s0, vcc_lo
	v_cmp_gt_i32_e64 s0, s13, v24
	s_and_b32 s68, s3, vcc_lo
	v_cmp_lt_i32_e32 vcc_lo, -1, v49
	v_mul_lo_u32 v23, v23, s15
	v_mul_lo_u32 v20, v20, s15
	v_or_b32_e32 v51, v13, v24
	v_or_b32_e32 v55, v28, v24
	s_and_b32 s1, s69, s1
	s_and_b32 s4, s70, s2
	;; [unrolled: 1-line block ×3, first 2 shown]
	v_cmp_lt_i32_e64 s1, -1, v50
	s_and_b32 s70, s4, s0
	s_and_b32 s4, s71, vcc_lo
	v_or_b32_e32 v58, v31, v24
	v_add_nc_u32_e32 v31, v18, v36
	v_add_nc_u32_e32 v35, v21, v36
	v_add_nc_u32_e32 v37, v18, v41
	v_add_nc_u32_e32 v39, v19, v41
	v_add_nc_u32_e32 v45, v19, v46
	v_add_nc_u32_e32 v47, v21, v46
	v_cmp_lt_i32_e64 s2, -1, v51
	s_and_b32 s71, s4, s0
	v_cmp_lt_i32_e64 s4, -1, v55
	v_add_nc_u32_e32 v55, v18, v22
	v_add_nc_u32_e32 v4, v18, v8
	;; [unrolled: 1-line block ×4, first 2 shown]
	v_or_b32_e32 v52, v15, v24
	v_or_b32_e32 v54, v17, v24
	v_add_nc_u32_e32 v33, v19, v36
	v_add_nc_u32_e32 v41, v21, v41
	;; [unrolled: 1-line block ×11, first 2 shown]
	s_and_b32 s1, s72, s1
	v_ashrrev_i32_e32 v28, 31, v27
	v_ashrrev_i32_e32 v30, 31, v29
	;; [unrolled: 1-line block ×8, first 2 shown]
	s_and_b32 s72, s1, s0
	s_and_b32 s1, s73, s2
	v_ashrrev_i32_e32 v56, 31, v55
	v_ashrrev_i32_e32 v5, 31, v4
	;; [unrolled: 1-line block ×11, first 2 shown]
	v_cmp_lt_i32_e64 s3, -1, v52
	v_ashrrev_i32_e32 v50, 31, v49
	v_ashrrev_i32_e32 v52, 31, v51
	v_cmp_lt_i32_e32 vcc_lo, -1, v54
	v_ashrrev_i32_e32 v54, 31, v53
	s_and_b32 s2, s1, s0
	v_cmp_lt_i32_e64 s1, -1, v58
	v_ashrrev_i32_e32 v58, 31, v57
	v_ashrrev_i32_e32 v60, 31, v59
	;; [unrolled: 1-line block ×5, first 2 shown]
	v_lshlrev_b64 v[18:19], 2, v[27:28]
	v_lshlrev_b64 v[20:21], 2, v[29:30]
	;; [unrolled: 1-line block ×9, first 2 shown]
	v_mul_lo_u32 v56, s50, v68
	v_lshlrev_b64 v[4:5], 2, v[4:5]
	v_lshlrev_b64 v[6:7], 2, v[6:7]
	;; [unrolled: 1-line block ×18, first 2 shown]
	v_add_nc_u32_e32 v73, s12, v69
	v_mov_b32_e32 v72, 0
	s_and_b32 s3, s74, s3
	s_and_b32 s73, s75, vcc_lo
	s_and_b32 s4, s76, s4
	s_and_b32 s74, s77, s1
	;; [unrolled: 1-line block ×6, first 2 shown]
	s_mov_b32 s4, 0
	s_branch .LBB19_7
.LBB19_6:                               ;   in Loop: Header=BB19_7 Depth=2
	s_or_b32 exec_lo, exec_lo, s0
	s_waitcnt vmcnt(26)
	v_fmac_f32_e32 v72, v74, v57
	v_add_nc_u32_e32 v69, 1, v69
	v_add_co_u32 v2, s0, 0x6c, v2
	v_add_co_ci_u32_e64 v3, null, 0, v3, s0
	s_waitcnt vmcnt(25)
	v_fmac_f32_e32 v72, v77, v79
	v_cmp_ge_i32_e32 vcc_lo, v69, v73
	v_add_nc_u32_e32 v56, s31, v56
	s_waitcnt vmcnt(24)
	v_fmac_f32_e32 v72, v80, v78
	s_or_b32 s4, vcc_lo, s4
	s_waitcnt vmcnt(23)
	v_fmac_f32_e32 v72, v81, v83
	s_waitcnt vmcnt(22)
	v_fmac_f32_e32 v72, v84, v82
	;; [unrolled: 2-line block ×24, first 2 shown]
	s_andn2_b32 exec_lo, exec_lo, s4
	s_cbranch_execz .LBB19_2
.LBB19_7:                               ;   Parent Loop BB19_4 Depth=1
                                        ; =>  This Inner Loop Header: Depth=2
	global_load_dword v74, v[2:3], off
	v_ashrrev_i32_e32 v57, 31, v56
	v_lshlrev_b64 v[75:76], 2, v[56:57]
	v_mov_b32_e32 v57, 0
	v_add_co_u32 v75, vcc_lo, v70, v75
	v_add_co_ci_u32_e64 v76, null, v71, v76, vcc_lo
	s_and_saveexec_b32 s0, s51
	s_cbranch_execz .LBB19_9
; %bb.8:                                ;   in Loop: Header=BB19_7 Depth=2
	v_add_co_u32 v77, vcc_lo, v75, v4
	v_add_co_ci_u32_e64 v78, null, v76, v5, vcc_lo
	global_load_dword v57, v[77:78], off
.LBB19_9:                               ;   in Loop: Header=BB19_7 Depth=2
	s_or_b32 exec_lo, exec_lo, s0
	global_load_dword v77, v[2:3], off offset:4
	v_mov_b32_e32 v78, 0
	v_mov_b32_e32 v79, 0
	s_and_saveexec_b32 s0, s52
	s_cbranch_execz .LBB19_11
; %bb.10:                               ;   in Loop: Header=BB19_7 Depth=2
	v_add_co_u32 v79, vcc_lo, v75, v6
	v_add_co_ci_u32_e64 v80, null, v76, v7, vcc_lo
	global_load_dword v79, v[79:80], off
.LBB19_11:                              ;   in Loop: Header=BB19_7 Depth=2
	s_or_b32 exec_lo, exec_lo, s0
	global_load_dword v80, v[2:3], off offset:8
	s_and_saveexec_b32 s0, s53
	s_cbranch_execz .LBB19_13
; %bb.12:                               ;   in Loop: Header=BB19_7 Depth=2
	v_add_co_u32 v81, vcc_lo, v75, v8
	v_add_co_ci_u32_e64 v82, null, v76, v9, vcc_lo
	global_load_dword v78, v[81:82], off
.LBB19_13:                              ;   in Loop: Header=BB19_7 Depth=2
	s_or_b32 exec_lo, exec_lo, s0
	global_load_dword v81, v[2:3], off offset:12
	v_mov_b32_e32 v82, 0
	v_mov_b32_e32 v83, 0
	s_and_saveexec_b32 s0, s54
	s_cbranch_execz .LBB19_15
; %bb.14:                               ;   in Loop: Header=BB19_7 Depth=2
	v_add_co_u32 v83, vcc_lo, v75, v10
	v_add_co_ci_u32_e64 v84, null, v76, v11, vcc_lo
	global_load_dword v83, v[83:84], off
.LBB19_15:                              ;   in Loop: Header=BB19_7 Depth=2
	s_or_b32 exec_lo, exec_lo, s0
	global_load_dword v84, v[2:3], off offset:16
	s_and_saveexec_b32 s0, s55
	s_cbranch_execz .LBB19_17
; %bb.16:                               ;   in Loop: Header=BB19_7 Depth=2
	v_add_co_u32 v85, vcc_lo, v75, v12
	v_add_co_ci_u32_e64 v86, null, v76, v13, vcc_lo
	global_load_dword v82, v[85:86], off
.LBB19_17:                              ;   in Loop: Header=BB19_7 Depth=2
	;; [unrolled: 20-line block ×12, first 2 shown]
	s_or_b32 exec_lo, exec_lo, s0
	global_load_dword v125, v[2:3], off offset:100
	v_mov_b32_e32 v126, 0
	v_mov_b32_e32 v127, 0
	s_and_saveexec_b32 s0, s1
	s_cbranch_execz .LBB19_59
; %bb.58:                               ;   in Loop: Header=BB19_7 Depth=2
	v_add_co_u32 v60, vcc_lo, v75, v54
	v_add_co_ci_u32_e64 v61, null, v76, v55, vcc_lo
	global_load_dword v127, v[60:61], off
.LBB19_59:                              ;   in Loop: Header=BB19_7 Depth=2
	s_or_b32 exec_lo, exec_lo, s0
	global_load_dword v60, v[2:3], off offset:104
	s_and_saveexec_b32 s0, s74
	s_cbranch_execz .LBB19_6
; %bb.60:                               ;   in Loop: Header=BB19_7 Depth=2
	v_add_co_u32 v75, vcc_lo, v75, v58
	v_add_co_ci_u32_e64 v76, null, v76, v59, vcc_lo
	global_load_dword v126, v[75:76], off
	s_branch .LBB19_6
.LBB19_61:                              ;   in Loop: Header=BB19_4 Depth=1
	v_mov_b32_e32 v72, 0
	s_branch .LBB19_3
.LBB19_62:
	s_endpgm
	.section	.rodata,"a",@progbits
	.p2align	6, 0x0
	.amdhsa_kernel _ZN2at6native12_GLOBAL__N_143conv_depthwise3d_cuda_backward_input_kernelIffLi3ELi3ELi3ELin1ELin1ELin1ELi1ELi1ELi1EEEvN5torch10headeronly6detail27GenericPackedTensorAccessorINS5_14TensorAccessorIN3c108ArrayRefIlEEKT_Lm4ENS4_16DefaultPtrTraitsEiEENS_6detail16IndexBoundsCheckILm5EiEESC_Lm5ESD_iEENS6_INS7_ISA_SB_Lm4ESD_iEESH_SB_Lm5ESD_iEESI_iiiiiiiii
		.amdhsa_group_segment_fixed_size 0
		.amdhsa_private_segment_fixed_size 12
		.amdhsa_kernarg_size 440
		.amdhsa_user_sgpr_count 6
		.amdhsa_user_sgpr_private_segment_buffer 1
		.amdhsa_user_sgpr_dispatch_ptr 0
		.amdhsa_user_sgpr_queue_ptr 0
		.amdhsa_user_sgpr_kernarg_segment_ptr 1
		.amdhsa_user_sgpr_dispatch_id 0
		.amdhsa_user_sgpr_flat_scratch_init 0
		.amdhsa_user_sgpr_private_segment_size 0
		.amdhsa_wavefront_size32 1
		.amdhsa_uses_dynamic_stack 0
		.amdhsa_system_sgpr_private_segment_wavefront_offset 1
		.amdhsa_system_sgpr_workgroup_id_x 1
		.amdhsa_system_sgpr_workgroup_id_y 0
		.amdhsa_system_sgpr_workgroup_id_z 0
		.amdhsa_system_sgpr_workgroup_info 0
		.amdhsa_system_vgpr_workitem_id 0
		.amdhsa_next_free_vgpr 128
		.amdhsa_next_free_sgpr 84
		.amdhsa_reserve_vcc 1
		.amdhsa_reserve_flat_scratch 0
		.amdhsa_float_round_mode_32 0
		.amdhsa_float_round_mode_16_64 0
		.amdhsa_float_denorm_mode_32 3
		.amdhsa_float_denorm_mode_16_64 3
		.amdhsa_dx10_clamp 1
		.amdhsa_ieee_mode 1
		.amdhsa_fp16_overflow 0
		.amdhsa_workgroup_processor_mode 1
		.amdhsa_memory_ordered 1
		.amdhsa_forward_progress 1
		.amdhsa_shared_vgpr_count 0
		.amdhsa_exception_fp_ieee_invalid_op 0
		.amdhsa_exception_fp_denorm_src 0
		.amdhsa_exception_fp_ieee_div_zero 0
		.amdhsa_exception_fp_ieee_overflow 0
		.amdhsa_exception_fp_ieee_underflow 0
		.amdhsa_exception_fp_ieee_inexact 0
		.amdhsa_exception_int_div_zero 0
	.end_amdhsa_kernel
	.section	.text._ZN2at6native12_GLOBAL__N_143conv_depthwise3d_cuda_backward_input_kernelIffLi3ELi3ELi3ELin1ELin1ELin1ELi1ELi1ELi1EEEvN5torch10headeronly6detail27GenericPackedTensorAccessorINS5_14TensorAccessorIN3c108ArrayRefIlEEKT_Lm4ENS4_16DefaultPtrTraitsEiEENS_6detail16IndexBoundsCheckILm5EiEESC_Lm5ESD_iEENS6_INS7_ISA_SB_Lm4ESD_iEESH_SB_Lm5ESD_iEESI_iiiiiiiii,"axG",@progbits,_ZN2at6native12_GLOBAL__N_143conv_depthwise3d_cuda_backward_input_kernelIffLi3ELi3ELi3ELin1ELin1ELin1ELi1ELi1ELi1EEEvN5torch10headeronly6detail27GenericPackedTensorAccessorINS5_14TensorAccessorIN3c108ArrayRefIlEEKT_Lm4ENS4_16DefaultPtrTraitsEiEENS_6detail16IndexBoundsCheckILm5EiEESC_Lm5ESD_iEENS6_INS7_ISA_SB_Lm4ESD_iEESH_SB_Lm5ESD_iEESI_iiiiiiiii,comdat
.Lfunc_end19:
	.size	_ZN2at6native12_GLOBAL__N_143conv_depthwise3d_cuda_backward_input_kernelIffLi3ELi3ELi3ELin1ELin1ELin1ELi1ELi1ELi1EEEvN5torch10headeronly6detail27GenericPackedTensorAccessorINS5_14TensorAccessorIN3c108ArrayRefIlEEKT_Lm4ENS4_16DefaultPtrTraitsEiEENS_6detail16IndexBoundsCheckILm5EiEESC_Lm5ESD_iEENS6_INS7_ISA_SB_Lm4ESD_iEESH_SB_Lm5ESD_iEESI_iiiiiiiii, .Lfunc_end19-_ZN2at6native12_GLOBAL__N_143conv_depthwise3d_cuda_backward_input_kernelIffLi3ELi3ELi3ELin1ELin1ELin1ELi1ELi1ELi1EEEvN5torch10headeronly6detail27GenericPackedTensorAccessorINS5_14TensorAccessorIN3c108ArrayRefIlEEKT_Lm4ENS4_16DefaultPtrTraitsEiEENS_6detail16IndexBoundsCheckILm5EiEESC_Lm5ESD_iEENS6_INS7_ISA_SB_Lm4ESD_iEESH_SB_Lm5ESD_iEESI_iiiiiiiii
                                        ; -- End function
	.set _ZN2at6native12_GLOBAL__N_143conv_depthwise3d_cuda_backward_input_kernelIffLi3ELi3ELi3ELin1ELin1ELin1ELi1ELi1ELi1EEEvN5torch10headeronly6detail27GenericPackedTensorAccessorINS5_14TensorAccessorIN3c108ArrayRefIlEEKT_Lm4ENS4_16DefaultPtrTraitsEiEENS_6detail16IndexBoundsCheckILm5EiEESC_Lm5ESD_iEENS6_INS7_ISA_SB_Lm4ESD_iEESH_SB_Lm5ESD_iEESI_iiiiiiiii.num_vgpr, 128
	.set _ZN2at6native12_GLOBAL__N_143conv_depthwise3d_cuda_backward_input_kernelIffLi3ELi3ELi3ELin1ELin1ELin1ELi1ELi1ELi1EEEvN5torch10headeronly6detail27GenericPackedTensorAccessorINS5_14TensorAccessorIN3c108ArrayRefIlEEKT_Lm4ENS4_16DefaultPtrTraitsEiEENS_6detail16IndexBoundsCheckILm5EiEESC_Lm5ESD_iEENS6_INS7_ISA_SB_Lm4ESD_iEESH_SB_Lm5ESD_iEESI_iiiiiiiii.num_agpr, 0
	.set _ZN2at6native12_GLOBAL__N_143conv_depthwise3d_cuda_backward_input_kernelIffLi3ELi3ELi3ELin1ELin1ELin1ELi1ELi1ELi1EEEvN5torch10headeronly6detail27GenericPackedTensorAccessorINS5_14TensorAccessorIN3c108ArrayRefIlEEKT_Lm4ENS4_16DefaultPtrTraitsEiEENS_6detail16IndexBoundsCheckILm5EiEESC_Lm5ESD_iEENS6_INS7_ISA_SB_Lm4ESD_iEESH_SB_Lm5ESD_iEESI_iiiiiiiii.numbered_sgpr, 84
	.set _ZN2at6native12_GLOBAL__N_143conv_depthwise3d_cuda_backward_input_kernelIffLi3ELi3ELi3ELin1ELin1ELin1ELi1ELi1ELi1EEEvN5torch10headeronly6detail27GenericPackedTensorAccessorINS5_14TensorAccessorIN3c108ArrayRefIlEEKT_Lm4ENS4_16DefaultPtrTraitsEiEENS_6detail16IndexBoundsCheckILm5EiEESC_Lm5ESD_iEENS6_INS7_ISA_SB_Lm4ESD_iEESH_SB_Lm5ESD_iEESI_iiiiiiiii.num_named_barrier, 0
	.set _ZN2at6native12_GLOBAL__N_143conv_depthwise3d_cuda_backward_input_kernelIffLi3ELi3ELi3ELin1ELin1ELin1ELi1ELi1ELi1EEEvN5torch10headeronly6detail27GenericPackedTensorAccessorINS5_14TensorAccessorIN3c108ArrayRefIlEEKT_Lm4ENS4_16DefaultPtrTraitsEiEENS_6detail16IndexBoundsCheckILm5EiEESC_Lm5ESD_iEENS6_INS7_ISA_SB_Lm4ESD_iEESH_SB_Lm5ESD_iEESI_iiiiiiiii.private_seg_size, 12
	.set _ZN2at6native12_GLOBAL__N_143conv_depthwise3d_cuda_backward_input_kernelIffLi3ELi3ELi3ELin1ELin1ELin1ELi1ELi1ELi1EEEvN5torch10headeronly6detail27GenericPackedTensorAccessorINS5_14TensorAccessorIN3c108ArrayRefIlEEKT_Lm4ENS4_16DefaultPtrTraitsEiEENS_6detail16IndexBoundsCheckILm5EiEESC_Lm5ESD_iEENS6_INS7_ISA_SB_Lm4ESD_iEESH_SB_Lm5ESD_iEESI_iiiiiiiii.uses_vcc, 1
	.set _ZN2at6native12_GLOBAL__N_143conv_depthwise3d_cuda_backward_input_kernelIffLi3ELi3ELi3ELin1ELin1ELin1ELi1ELi1ELi1EEEvN5torch10headeronly6detail27GenericPackedTensorAccessorINS5_14TensorAccessorIN3c108ArrayRefIlEEKT_Lm4ENS4_16DefaultPtrTraitsEiEENS_6detail16IndexBoundsCheckILm5EiEESC_Lm5ESD_iEENS6_INS7_ISA_SB_Lm4ESD_iEESH_SB_Lm5ESD_iEESI_iiiiiiiii.uses_flat_scratch, 0
	.set _ZN2at6native12_GLOBAL__N_143conv_depthwise3d_cuda_backward_input_kernelIffLi3ELi3ELi3ELin1ELin1ELin1ELi1ELi1ELi1EEEvN5torch10headeronly6detail27GenericPackedTensorAccessorINS5_14TensorAccessorIN3c108ArrayRefIlEEKT_Lm4ENS4_16DefaultPtrTraitsEiEENS_6detail16IndexBoundsCheckILm5EiEESC_Lm5ESD_iEENS6_INS7_ISA_SB_Lm4ESD_iEESH_SB_Lm5ESD_iEESI_iiiiiiiii.has_dyn_sized_stack, 0
	.set _ZN2at6native12_GLOBAL__N_143conv_depthwise3d_cuda_backward_input_kernelIffLi3ELi3ELi3ELin1ELin1ELin1ELi1ELi1ELi1EEEvN5torch10headeronly6detail27GenericPackedTensorAccessorINS5_14TensorAccessorIN3c108ArrayRefIlEEKT_Lm4ENS4_16DefaultPtrTraitsEiEENS_6detail16IndexBoundsCheckILm5EiEESC_Lm5ESD_iEENS6_INS7_ISA_SB_Lm4ESD_iEESH_SB_Lm5ESD_iEESI_iiiiiiiii.has_recursion, 0
	.set _ZN2at6native12_GLOBAL__N_143conv_depthwise3d_cuda_backward_input_kernelIffLi3ELi3ELi3ELin1ELin1ELin1ELi1ELi1ELi1EEEvN5torch10headeronly6detail27GenericPackedTensorAccessorINS5_14TensorAccessorIN3c108ArrayRefIlEEKT_Lm4ENS4_16DefaultPtrTraitsEiEENS_6detail16IndexBoundsCheckILm5EiEESC_Lm5ESD_iEENS6_INS7_ISA_SB_Lm4ESD_iEESH_SB_Lm5ESD_iEESI_iiiiiiiii.has_indirect_call, 0
	.section	.AMDGPU.csdata,"",@progbits
; Kernel info:
; codeLenInByte = 4132
; TotalNumSgprs: 86
; NumVgprs: 128
; ScratchSize: 12
; MemoryBound: 0
; FloatMode: 240
; IeeeMode: 1
; LDSByteSize: 0 bytes/workgroup (compile time only)
; SGPRBlocks: 0
; VGPRBlocks: 15
; NumSGPRsForWavesPerEU: 86
; NumVGPRsForWavesPerEU: 128
; Occupancy: 8
; WaveLimiterHint : 0
; COMPUTE_PGM_RSRC2:SCRATCH_EN: 1
; COMPUTE_PGM_RSRC2:USER_SGPR: 6
; COMPUTE_PGM_RSRC2:TRAP_HANDLER: 0
; COMPUTE_PGM_RSRC2:TGID_X_EN: 1
; COMPUTE_PGM_RSRC2:TGID_Y_EN: 0
; COMPUTE_PGM_RSRC2:TGID_Z_EN: 0
; COMPUTE_PGM_RSRC2:TIDIG_COMP_CNT: 0
	.section	.text._ZN2at6native12_GLOBAL__N_143conv_depthwise3d_cuda_backward_input_kernelIffLi3ELi3ELi3ELin1ELin1ELin1ELin1ELin1ELin1EEEvN5torch10headeronly6detail27GenericPackedTensorAccessorINS5_14TensorAccessorIN3c108ArrayRefIlEEKT_Lm4ENS4_16DefaultPtrTraitsEiEENS_6detail16IndexBoundsCheckILm5EiEESC_Lm5ESD_iEENS6_INS7_ISA_SB_Lm4ESD_iEESH_SB_Lm5ESD_iEESI_iiiiiiiii,"axG",@progbits,_ZN2at6native12_GLOBAL__N_143conv_depthwise3d_cuda_backward_input_kernelIffLi3ELi3ELi3ELin1ELin1ELin1ELin1ELin1ELin1EEEvN5torch10headeronly6detail27GenericPackedTensorAccessorINS5_14TensorAccessorIN3c108ArrayRefIlEEKT_Lm4ENS4_16DefaultPtrTraitsEiEENS_6detail16IndexBoundsCheckILm5EiEESC_Lm5ESD_iEENS6_INS7_ISA_SB_Lm4ESD_iEESH_SB_Lm5ESD_iEESI_iiiiiiiii,comdat
	.globl	_ZN2at6native12_GLOBAL__N_143conv_depthwise3d_cuda_backward_input_kernelIffLi3ELi3ELi3ELin1ELin1ELin1ELin1ELin1ELin1EEEvN5torch10headeronly6detail27GenericPackedTensorAccessorINS5_14TensorAccessorIN3c108ArrayRefIlEEKT_Lm4ENS4_16DefaultPtrTraitsEiEENS_6detail16IndexBoundsCheckILm5EiEESC_Lm5ESD_iEENS6_INS7_ISA_SB_Lm4ESD_iEESH_SB_Lm5ESD_iEESI_iiiiiiiii ; -- Begin function _ZN2at6native12_GLOBAL__N_143conv_depthwise3d_cuda_backward_input_kernelIffLi3ELi3ELi3ELin1ELin1ELin1ELin1ELin1ELin1EEEvN5torch10headeronly6detail27GenericPackedTensorAccessorINS5_14TensorAccessorIN3c108ArrayRefIlEEKT_Lm4ENS4_16DefaultPtrTraitsEiEENS_6detail16IndexBoundsCheckILm5EiEESC_Lm5ESD_iEENS6_INS7_ISA_SB_Lm4ESD_iEESH_SB_Lm5ESD_iEESI_iiiiiiiii
	.p2align	8
	.type	_ZN2at6native12_GLOBAL__N_143conv_depthwise3d_cuda_backward_input_kernelIffLi3ELi3ELi3ELin1ELin1ELin1ELin1ELin1ELin1EEEvN5torch10headeronly6detail27GenericPackedTensorAccessorINS5_14TensorAccessorIN3c108ArrayRefIlEEKT_Lm4ENS4_16DefaultPtrTraitsEiEENS_6detail16IndexBoundsCheckILm5EiEESC_Lm5ESD_iEENS6_INS7_ISA_SB_Lm4ESD_iEESH_SB_Lm5ESD_iEESI_iiiiiiiii,@function
_ZN2at6native12_GLOBAL__N_143conv_depthwise3d_cuda_backward_input_kernelIffLi3ELi3ELi3ELin1ELin1ELin1ELin1ELin1ELin1EEEvN5torch10headeronly6detail27GenericPackedTensorAccessorINS5_14TensorAccessorIN3c108ArrayRefIlEEKT_Lm4ENS4_16DefaultPtrTraitsEiEENS_6detail16IndexBoundsCheckILm5EiEESC_Lm5ESD_iEENS6_INS7_ISA_SB_Lm4ESD_iEESH_SB_Lm5ESD_iEESI_iiiiiiiii: ; @_ZN2at6native12_GLOBAL__N_143conv_depthwise3d_cuda_backward_input_kernelIffLi3ELi3ELi3ELin1ELin1ELin1ELin1ELin1ELin1EEEvN5torch10headeronly6detail27GenericPackedTensorAccessorINS5_14TensorAccessorIN3c108ArrayRefIlEEKT_Lm4ENS4_16DefaultPtrTraitsEiEENS_6detail16IndexBoundsCheckILm5EiEESC_Lm5ESD_iEENS6_INS7_ISA_SB_Lm4ESD_iEESH_SB_Lm5ESD_iEESI_iiiiiiiii
; %bb.0:
	s_mov_b64 s[102:103], s[2:3]
	s_mov_b64 s[100:101], s[0:1]
	s_clause 0x2
	s_load_dwordx4 s[44:47], s[4:5], 0x38
	s_load_dword s2, s[4:5], 0xc4
	s_load_dwordx2 s[64:65], s[4:5], 0x48
	s_add_u32 s100, s100, s7
	s_addc_u32 s101, s101, 0
                                        ; implicit-def: $vgpr127 : SGPR spill to VGPR lane
	s_waitcnt lgkmcnt(0)
	s_abs_i32 s76, s45
	s_add_u32 s0, s4, 0xb8
	v_cvt_f32_u32_e32 v1, s76
	s_addc_u32 s1, s5, 0
	s_and_b32 s2, s2, 0xffff
	v_rcp_iflag_f32_e32 v2, v1
	v_mov_b32_e32 v1, 0
	v_mad_u64_u32 v[0:1], null, s2, s6, v[0:1]
	s_mul_i32 s6, s65, s44
	v_mul_f32_e32 v2, 0x4f7ffffe, v2
	s_ashr_i32 s7, s6, 31
	v_writelane_b32 v127, s6, 0
	v_cmp_gt_i64_e32 vcc_lo, s[6:7], v[0:1]
	v_cvt_u32_f32_e32 v2, v2
	v_writelane_b32 v127, s7, 1
	v_readfirstlane_b32 s3, v2
	s_and_saveexec_b32 s6, vcc_lo
	s_cbranch_execz .LBB20_62
; %bb.1:
	s_clause 0x1
	s_load_dwordx4 s[56:59], s[4:5], 0xc
	s_load_dwordx2 s[12:13], s[4:5], 0x0
	s_sub_i32 s6, 0, s76
	s_load_dword s11, s[4:5], 0x7c
	s_mul_i32 s7, s6, s3
	s_load_dword s0, s[0:1], 0x0
	s_mul_hi_u32 s7, s3, s7
	s_ashr_i32 s9, s45, 31
	s_add_i32 s3, s3, s7
	s_clause 0x1
	s_load_dwordx8 s[48:55], s[4:5], 0x90
	s_load_dword s10, s[4:5], 0xb0
	v_mul_lo_u32 v3, s6, v2
	s_clause 0x3
	s_load_dwordx2 s[70:71], s[4:5], 0x1c
	s_load_dwordx2 s[72:73], s[4:5], 0x30
	;; [unrolled: 1-line block ×3, first 2 shown]
	s_load_dwordx4 s[60:63], s[4:5], 0x50
	s_mov_b32 s78, 0
	v_mul_hi_u32 v3, v2, v3
	s_waitcnt lgkmcnt(0)
	s_abs_i32 s7, s56
	v_writelane_b32 v127, s12, 2
	s_mul_hi_u32 s1, s7, s3
	s_ashr_i32 s3, s56, 31
	s_mul_i32 s8, s1, s76
	s_xor_b32 s3, s3, s9
	v_writelane_b32 v127, s13, 3
	s_sub_i32 s7, s7, s8
	s_add_i32 s8, s1, 1
	s_mul_i32 s0, s0, s2
	v_add_nc_u32_e32 v2, v2, v3
	v_writelane_b32 v127, s9, 4
	s_sub_i32 s9, s7, s76
	s_cmp_ge_u32 s7, s76
	s_cselect_b32 s1, s8, s1
	s_cselect_b32 s7, s9, s7
	s_add_i32 s8, s1, 1
	s_cmp_ge_u32 s7, s76
	v_writelane_b32 v127, s11, 5
	s_cselect_b32 s1, s8, s1
	buffer_store_dword v2, off, s[100:103], 0 offset:12 ; 4-byte Folded Spill
	s_xor_b32 s1, s1, s3
	s_sub_i32 s80, s1, s3
	v_writelane_b32 v127, s0, 6
	s_cmp_gt_i32 s80, 0
	s_cselect_b32 s0, -1, 0
	s_abs_i32 s86, s64
	v_writelane_b32 v127, s0, 7
	v_cvt_f32_u32_e32 v4, s86
	s_abs_i32 s87, s47
	s_abs_i32 s88, s46
	v_cvt_f32_u32_e32 v5, s87
	v_writelane_b32 v127, s10, 8
	v_rcp_iflag_f32_e32 v4, v4
	s_abs_i32 s89, s48
	s_abs_i32 s90, s49
	;; [unrolled: 1-line block ×3, first 2 shown]
	v_cvt_f32_u32_e32 v6, s88
	v_cvt_f32_u32_e32 v7, s89
	;; [unrolled: 1-line block ×4, first 2 shown]
	v_rcp_iflag_f32_e32 v5, v5
	s_lshl_b32 s0, s10, 1
	v_rcp_iflag_f32_e32 v6, v6
	v_writelane_b32 v127, s0, 9
	v_rcp_iflag_f32_e32 v7, v7
	v_rcp_iflag_f32_e32 v8, v8
	v_rcp_iflag_f32_e32 v9, v9
	v_mul_f32_e32 v4, 0x4f7ffffe, v4
	s_lshl_b32 s0, s55, 1
	s_sub_i32 s1, 0, s87
	v_writelane_b32 v127, s0, 10
	v_mul_f32_e32 v5, 0x4f7ffffe, v5
	v_cvt_u32_f32_e32 v4, v4
	s_lshl_b32 s0, s54, 1
	v_mul_f32_e32 v6, 0x4f7ffffe, v6
	v_writelane_b32 v127, s0, 11
	s_sub_i32 s0, 0, s86
	v_mul_f32_e32 v7, 0x4f7ffffe, v7
	v_mul_f32_e32 v8, 0x4f7ffffe, v8
	;; [unrolled: 1-line block ×3, first 2 shown]
	v_cvt_u32_f32_e32 v5, v5
	v_mul_lo_u32 v10, s0, v4
	v_cvt_u32_f32_e32 v6, v6
	v_cvt_u32_f32_e32 v7, v7
	;; [unrolled: 1-line block ×3, first 2 shown]
	v_mul_lo_u32 v11, s1, v5
	v_cvt_u32_f32_e32 v9, v9
	s_sub_i32 s2, 0, s88
	s_sub_i32 s3, 0, s89
	;; [unrolled: 1-line block ×4, first 2 shown]
	v_mul_hi_u32 v10, v4, v10
	v_mul_lo_u32 v12, s2, v6
	v_mul_lo_u32 v13, s3, v7
	;; [unrolled: 1-line block ×4, first 2 shown]
	v_mul_hi_u32 v11, v5, v11
	s_ashr_i32 s0, s64, 31
	s_ashr_i32 s95, s48, 31
	v_writelane_b32 v127, s0, 12
	v_add_nc_u32_e32 v4, v4, v10
	v_mul_hi_u32 v12, v6, v12
	v_mul_hi_u32 v13, v7, v13
	;; [unrolled: 1-line block ×4, first 2 shown]
	s_ashr_i32 s0, s47, 31
	buffer_store_dword v4, off, s[100:103], 0 ; 4-byte Folded Spill
	v_writelane_b32 v127, s0, 13
	v_add_nc_u32_e32 v4, v5, v11
	s_ashr_i32 s0, s46, 31
	v_add_nc_u32_e32 v2, v7, v13
	v_add_nc_u32_e32 v65, v8, v14
	v_writelane_b32 v127, s0, 14
	buffer_store_dword v4, off, s[100:103], 0 offset:4 ; 4-byte Folded Spill
	v_add_nc_u32_e32 v4, v6, v12
	v_add_nc_u32_e32 v66, v9, v15
	s_ashr_i32 s96, s49, 31
	s_ashr_i32 s97, s50, 31
	buffer_store_dword v2, off, s[100:103], 0 offset:16 ; 4-byte Folded Spill
	buffer_store_dword v4, off, s[100:103], 0 offset:8 ; 4-byte Folded Spill
	s_branch .LBB20_4
.LBB20_2:                               ;   in Loop: Header=BB20_4 Depth=1
	s_or_b32 exec_lo, exec_lo, s41
.LBB20_3:                               ;   in Loop: Header=BB20_4 Depth=1
	v_mul_lo_u32 v2, v70, s65
	v_mul_lo_u32 v4, s60, v71
	v_mul_lo_u32 v6, s61, v69
	v_readlane_b32 s0, v127, 6
	v_mul_lo_u32 v8, s62, v68
	v_mul_lo_u32 v10, s63, v67
	v_add_co_u32 v0, vcc_lo, v0, s0
	v_ashrrev_i32_e32 v3, 31, v2
	v_ashrrev_i32_e32 v5, 31, v4
	v_ashrrev_i32_e32 v7, 31, v6
	v_add_co_ci_u32_e64 v1, null, 0, v1, vcc_lo
	v_lshlrev_b64 v[2:3], 2, v[2:3]
	v_lshlrev_b64 v[4:5], 2, v[4:5]
	v_ashrrev_i32_e32 v9, 31, v8
	v_ashrrev_i32_e32 v11, 31, v10
	v_readlane_b32 s0, v127, 0
	v_readlane_b32 s1, v127, 1
	v_add_co_u32 v12, vcc_lo, s72, v2
	v_add_co_ci_u32_e64 v13, null, s73, v3, vcc_lo
	v_lshlrev_b64 v[2:3], 2, v[6:7]
	v_add_co_u32 v6, vcc_lo, v12, v4
	v_add_co_ci_u32_e64 v7, null, v13, v5, vcc_lo
	v_lshlrev_b64 v[4:5], 2, v[8:9]
	;; [unrolled: 3-line block ×3, first 2 shown]
	v_add_co_u32 v4, vcc_lo, v6, v4
	v_add_co_ci_u32_e64 v5, null, v7, v5, vcc_lo
	v_cmp_le_i64_e32 vcc_lo, s[0:1], v[0:1]
	v_add_co_u32 v2, s0, v4, v2
	v_add_co_ci_u32_e64 v3, null, v5, v3, s0
	s_or_b32 s78, vcc_lo, s78
	global_store_dword v[2:3], v75, off
	s_andn2_b32 exec_lo, exec_lo, s78
	s_cbranch_execz .LBB20_62
.LBB20_4:                               ; =>This Loop Header: Depth=1
                                        ;     Child Loop BB20_7 Depth 2
	buffer_load_dword v3, off, s[100:103], 0 ; 4-byte Folded Reload
	v_sub_nc_u32_e32 v2, 0, v0
	v_readlane_b32 s0, v127, 12
	v_max_i32_e32 v2, v0, v2
	s_waitcnt vmcnt(0)
	v_mul_hi_u32 v3, v2, v3
	v_mul_lo_u32 v4, v3, s86
	v_sub_nc_u32_e32 v2, v2, v4
	v_add_nc_u32_e32 v4, 1, v3
	v_subrev_nc_u32_e32 v5, s86, v2
	v_cmp_le_u32_e32 vcc_lo, s86, v2
	v_cndmask_b32_e32 v3, v3, v4, vcc_lo
	v_cndmask_b32_e32 v2, v2, v5, vcc_lo
	v_ashrrev_i32_e32 v4, 31, v0
	v_add_nc_u32_e32 v5, 1, v3
	v_cmp_le_u32_e32 vcc_lo, s86, v2
	v_xor_b32_e32 v4, s0, v4
	v_readlane_b32 s0, v127, 13
	v_cndmask_b32_e32 v2, v3, v5, vcc_lo
	v_xor_b32_e32 v2, v2, v4
	v_sub_nc_u32_e32 v2, v2, v4
	buffer_load_dword v4, off, s[100:103], 0 offset:4 ; 4-byte Folded Reload
	v_sub_nc_u32_e32 v3, 0, v2
	v_max_i32_e32 v3, v2, v3
	s_waitcnt vmcnt(0)
	v_mul_hi_u32 v4, v3, v4
	v_mul_lo_u32 v5, v4, s87
	v_sub_nc_u32_e32 v3, v3, v5
	v_add_nc_u32_e32 v5, 1, v4
	v_subrev_nc_u32_e32 v6, s87, v3
	v_cmp_le_u32_e32 vcc_lo, s87, v3
	v_cndmask_b32_e32 v4, v4, v5, vcc_lo
	v_cndmask_b32_e32 v3, v3, v6, vcc_lo
	v_ashrrev_i32_e32 v5, 31, v2
	v_add_nc_u32_e32 v6, 1, v4
	v_cmp_le_u32_e32 vcc_lo, s87, v3
	v_xor_b32_e32 v5, s0, v5
	v_readlane_b32 s0, v127, 14
	v_cndmask_b32_e32 v3, v4, v6, vcc_lo
	v_xor_b32_e32 v3, v3, v5
	v_sub_nc_u32_e32 v3, v3, v5
	buffer_load_dword v5, off, s[100:103], 0 offset:8 ; 4-byte Folded Reload
	v_sub_nc_u32_e32 v4, 0, v3
	v_max_i32_e32 v4, v3, v4
	s_waitcnt vmcnt(0)
	v_mul_hi_u32 v5, v4, v5
	v_mul_lo_u32 v6, v5, s88
	v_sub_nc_u32_e32 v4, v4, v6
	v_add_nc_u32_e32 v6, 1, v5
	v_subrev_nc_u32_e32 v7, s88, v4
	v_cmp_le_u32_e32 vcc_lo, s88, v4
	v_cndmask_b32_e32 v5, v5, v6, vcc_lo
	v_cndmask_b32_e32 v4, v4, v7, vcc_lo
	v_ashrrev_i32_e32 v6, 31, v3
	v_add_nc_u32_e32 v7, 1, v5
	v_cmp_le_u32_e32 vcc_lo, s88, v4
	v_xor_b32_e32 v6, s0, v6
	v_readlane_b32 s0, v127, 4
	v_cndmask_b32_e32 v4, v5, v7, vcc_lo
	v_xor_b32_e32 v4, v4, v6
	v_sub_nc_u32_e32 v4, v4, v6
	buffer_load_dword v6, off, s[100:103], 0 offset:12 ; 4-byte Folded Reload
	v_sub_nc_u32_e32 v5, 0, v4
	v_max_i32_e32 v5, v4, v5
	s_waitcnt vmcnt(0)
	v_mul_hi_u32 v6, v5, v6
	v_mul_lo_u32 v7, v6, s76
	v_sub_nc_u32_e32 v5, v5, v7
	v_add_nc_u32_e32 v7, 1, v6
	v_subrev_nc_u32_e32 v8, s76, v5
	v_cmp_le_u32_e32 vcc_lo, s76, v5
	v_cndmask_b32_e32 v6, v6, v7, vcc_lo
	v_cndmask_b32_e32 v5, v5, v8, vcc_lo
	v_ashrrev_i32_e32 v7, 31, v4
	v_add_nc_u32_e32 v8, 1, v6
	v_cmp_le_u32_e32 vcc_lo, s76, v5
	v_xor_b32_e32 v7, s0, v7
	v_readlane_b32 s0, v127, 7
	v_cndmask_b32_e32 v5, v6, v8, vcc_lo
	v_mul_lo_u32 v6, v3, s47
	s_andn2_b32 vcc_lo, exec_lo, s0
	v_xor_b32_e32 v5, v5, v7
	v_sub_nc_u32_e32 v68, v2, v6
	v_sub_nc_u32_e32 v70, v5, v7
	v_mul_lo_u32 v5, v2, s64
	v_mul_lo_u32 v7, v4, s46
	;; [unrolled: 1-line block ×3, first 2 shown]
	v_sub_nc_u32_e32 v67, v0, v5
	v_sub_nc_u32_e32 v69, v3, v7
	;; [unrolled: 1-line block ×3, first 2 shown]
	s_cbranch_vccnz .LBB20_61
; %bb.5:                                ;   in Loop: Header=BB20_4 Depth=1
	v_mul_lo_u32 v72, v71, s80
	v_readlane_b32 s0, v127, 5
	v_add_nc_u32_e32 v4, s53, v67
	v_readlane_b32 s1, v127, 9
	buffer_load_dword v12, off, s[100:103], 0 offset:16 ; 4-byte Folded Reload
	v_readlane_b32 s10, v127, 2
	v_readlane_b32 s11, v127, 3
	v_mul_lo_u32 v2, s0, v72
	v_readlane_b32 s0, v127, 8
	v_subrev_nc_u32_e32 v5, s0, v4
	v_ashrrev_i32_e32 v3, 31, v2
	v_sub_nc_u32_e32 v6, 0, v5
	v_lshlrev_b64 v[2:3], 2, v[2:3]
	v_max_i32_e32 v6, v5, v6
	v_add_co_u32 v2, vcc_lo, s74, v2
	v_mul_hi_u32 v7, v6, v66
	v_add_co_ci_u32_e64 v3, null, s75, v3, vcc_lo
	v_mul_lo_u32 v8, v7, s91
	v_sub_nc_u32_e32 v6, v6, v8
	v_add_nc_u32_e32 v8, 1, v7
	v_cmp_le_u32_e32 vcc_lo, s91, v6
	v_cndmask_b32_e32 v7, v7, v8, vcc_lo
	v_subrev_nc_u32_e32 v8, s91, v6
	v_cndmask_b32_e32 v6, v6, v8, vcc_lo
	v_add_nc_u32_e32 v8, 1, v7
	v_cmp_le_u32_e32 vcc_lo, s91, v6
	v_cndmask_b32_e32 v6, v7, v8, vcc_lo
	v_ashrrev_i32_e32 v7, 31, v5
	v_xor_b32_e32 v7, s97, v7
	v_xor_b32_e32 v6, v6, v7
	v_sub_nc_u32_e32 v22, v6, v7
	v_mul_lo_u32 v6, v22, s50
	v_cmp_gt_i32_e64 s43, s59, v22
	v_cmp_eq_u32_e32 vcc_lo, v6, v5
	v_sub_nc_u32_e32 v5, 0, v4
	v_max_i32_e32 v5, v4, v5
	v_mul_hi_u32 v6, v5, v66
	v_mul_lo_u32 v7, v6, s91
	v_sub_nc_u32_e32 v5, v5, v7
	v_add_nc_u32_e32 v7, 1, v6
	v_cmp_le_u32_e64 s0, s91, v5
	v_cndmask_b32_e64 v6, v6, v7, s0
	v_subrev_nc_u32_e32 v7, s91, v5
	v_cndmask_b32_e64 v5, v5, v7, s0
	v_add_nc_u32_e32 v7, 1, v6
	v_cmp_le_u32_e64 s0, s91, v5
	v_cndmask_b32_e64 v5, v6, v7, s0
	v_ashrrev_i32_e32 v6, 31, v4
	v_xor_b32_e32 v6, s97, v6
	v_xor_b32_e32 v5, v5, v6
	v_sub_nc_u32_e32 v23, v5, v6
	v_mul_lo_u32 v5, v23, s50
	v_cmp_gt_i32_e64 s42, s59, v23
	v_cmp_eq_u32_e64 s0, v5, v4
	v_subrev_nc_u32_e32 v4, s1, v4
	v_sub_nc_u32_e32 v5, 0, v4
	v_max_i32_e32 v5, v4, v5
	v_mul_hi_u32 v6, v5, v66
	v_mul_lo_u32 v7, v6, s91
	v_sub_nc_u32_e32 v5, v5, v7
	v_add_nc_u32_e32 v7, 1, v6
	v_cmp_le_u32_e64 s1, s91, v5
	v_cndmask_b32_e64 v6, v6, v7, s1
	v_subrev_nc_u32_e32 v7, s91, v5
	v_cndmask_b32_e64 v5, v5, v7, s1
	v_add_nc_u32_e32 v7, 1, v6
	v_cmp_le_u32_e64 s1, s91, v5
	v_cndmask_b32_e64 v5, v6, v7, s1
	v_ashrrev_i32_e32 v6, 31, v4
	v_xor_b32_e32 v6, s97, v6
	v_xor_b32_e32 v5, v5, v6
	v_sub_nc_u32_e32 v24, v5, v6
	v_mul_lo_u32 v5, v24, s50
	v_cmp_gt_i32_e64 s44, s59, v24
	v_cmp_eq_u32_e64 s1, v5, v4
	v_add_nc_u32_e32 v5, s52, v68
	v_subrev_nc_u32_e32 v6, s55, v5
	v_sub_nc_u32_e32 v4, 0, v6
	v_max_i32_e32 v4, v6, v4
	v_mul_hi_u32 v7, v4, v65
	v_mul_lo_u32 v8, v7, s90
	v_sub_nc_u32_e32 v4, v4, v8
	v_add_nc_u32_e32 v8, 1, v7
	v_cmp_le_u32_e64 s2, s90, v4
	v_cndmask_b32_e64 v7, v7, v8, s2
	v_subrev_nc_u32_e32 v8, s90, v4
	v_cndmask_b32_e64 v4, v4, v8, s2
	v_add_nc_u32_e32 v8, 1, v7
	v_cmp_le_u32_e64 s2, s90, v4
	v_cndmask_b32_e64 v4, v7, v8, s2
	v_ashrrev_i32_e32 v7, 31, v6
	v_xor_b32_e32 v7, s96, v7
	v_xor_b32_e32 v4, v4, v7
	v_sub_nc_u32_e32 v4, v4, v7
	v_mul_lo_u32 v7, v4, s49
	v_cmp_gt_i32_e64 s36, s58, v4
	s_and_b32 s94, s42, s36
	s_and_b32 s66, s43, s36
	v_cmp_eq_u32_e64 s3, v7, v6
	v_sub_nc_u32_e32 v6, 0, v5
	s_and_b32 s67, s44, s36
	v_max_i32_e32 v6, v5, v6
	v_mul_hi_u32 v7, v6, v65
	v_mul_lo_u32 v8, v7, s90
	v_sub_nc_u32_e32 v6, v6, v8
	v_subrev_nc_u32_e32 v8, s90, v6
	v_cmp_le_u32_e64 s2, s90, v6
	v_cndmask_b32_e64 v6, v6, v8, s2
	v_add_nc_u32_e32 v8, 1, v7
	v_cndmask_b32_e64 v7, v7, v8, s2
	v_cmp_le_u32_e64 s2, s90, v6
	v_add_nc_u32_e32 v8, 1, v7
	v_cndmask_b32_e64 v6, v7, v8, s2
	v_ashrrev_i32_e32 v7, 31, v5
	v_readlane_b32 s2, v127, 10
	v_xor_b32_e32 v7, s96, v7
	v_xor_b32_e32 v6, v6, v7
	v_sub_nc_u32_e32 v6, v6, v7
	v_mul_lo_u32 v7, v6, s49
	v_cmp_gt_i32_e64 s37, s58, v6
	s_and_b32 s77, s42, s37
	s_and_b32 s81, s43, s37
	v_cmp_eq_u32_e64 s4, v7, v5
	v_subrev_nc_u32_e32 v7, s2, v5
	s_and_b32 s82, s44, s37
	v_sub_nc_u32_e32 v5, 0, v7
	v_max_i32_e32 v5, v7, v5
	v_mul_hi_u32 v8, v5, v65
	v_mul_lo_u32 v9, v8, s90
	v_sub_nc_u32_e32 v5, v5, v9
	v_subrev_nc_u32_e32 v9, s90, v5
	v_cmp_le_u32_e64 s2, s90, v5
	v_cndmask_b32_e64 v5, v5, v9, s2
	v_add_nc_u32_e32 v9, 1, v8
	v_cndmask_b32_e64 v8, v8, v9, s2
	v_cmp_le_u32_e64 s2, s90, v5
	v_add_nc_u32_e32 v9, 1, v8
	v_cndmask_b32_e64 v5, v8, v9, s2
	v_ashrrev_i32_e32 v8, 31, v7
	v_add_nc_u32_e32 v9, s51, v69
	v_xor_b32_e32 v8, s96, v8
	v_xor_b32_e32 v5, v5, v8
	v_sub_nc_u32_e32 v5, v5, v8
	v_mul_lo_u32 v8, v5, s49
	v_cmp_gt_i32_e64 s35, s58, v5
	s_and_b32 s68, s42, s35
	s_and_b32 s92, s43, s35
	v_cmp_eq_u32_e64 s2, v8, v7
	v_subrev_nc_u32_e32 v8, s54, v9
	s_and_b32 s93, s44, s35
	v_sub_nc_u32_e32 v7, 0, v8
	v_max_i32_e32 v7, v8, v7
	s_waitcnt vmcnt(0)
	v_mul_hi_u32 v10, v7, v12
	v_mul_lo_u32 v11, v10, s89
	v_sub_nc_u32_e32 v7, v7, v11
	v_subrev_nc_u32_e32 v11, s89, v7
	v_cmp_le_u32_e64 s5, s89, v7
	v_cndmask_b32_e64 v7, v7, v11, s5
	v_add_nc_u32_e32 v11, 1, v10
	v_cndmask_b32_e64 v10, v10, v11, s5
	v_cmp_le_u32_e64 s5, s89, v7
	v_add_nc_u32_e32 v11, 1, v10
	v_cndmask_b32_e64 v7, v10, v11, s5
	v_ashrrev_i32_e32 v10, 31, v8
	v_xor_b32_e32 v10, s95, v10
	v_xor_b32_e32 v7, v7, v10
	v_sub_nc_u32_e32 v7, v7, v10
	v_mul_lo_u32 v10, v7, s48
	v_cmp_gt_i32_e64 s33, s57, v7
	v_cmp_eq_u32_e64 s9, v10, v8
	v_sub_nc_u32_e32 v8, 0, v9
	s_and_b32 s69, s9, s3
	v_max_i32_e32 v8, v9, v8
	v_mul_hi_u32 v10, v8, v12
	v_mul_lo_u32 v11, v10, s89
	v_sub_nc_u32_e32 v8, v8, v11
	v_subrev_nc_u32_e32 v11, s89, v8
	v_cmp_le_u32_e64 s5, s89, v8
	v_cndmask_b32_e64 v8, v8, v11, s5
	v_add_nc_u32_e32 v11, 1, v10
	v_cndmask_b32_e64 v10, v10, v11, s5
	v_cmp_le_u32_e64 s5, s89, v8
	v_add_nc_u32_e32 v11, 1, v10
	v_cndmask_b32_e64 v8, v10, v11, s5
	v_ashrrev_i32_e32 v10, 31, v9
	v_readlane_b32 s5, v127, 11
	v_xor_b32_e32 v10, s95, v10
	v_xor_b32_e32 v8, v8, v10
	v_sub_nc_u32_e32 v8, v8, v10
	v_mul_lo_u32 v10, v8, s48
	v_cmp_gt_i32_e64 s34, s57, v8
	v_cmp_eq_u32_e64 s13, v10, v9
	v_subrev_nc_u32_e32 v10, s5, v9
	s_and_b32 s56, s13, s4
	v_sub_nc_u32_e32 v9, 0, v10
	v_max_i32_e32 v9, v10, v9
	v_mul_hi_u32 v11, v9, v12
	v_mul_lo_u32 v12, v11, s89
	v_sub_nc_u32_e32 v9, v9, v12
	v_subrev_nc_u32_e32 v12, s89, v9
	v_cmp_le_u32_e64 s5, s89, v9
	v_cndmask_b32_e64 v9, v9, v12, s5
	v_add_nc_u32_e32 v12, 1, v11
	v_cndmask_b32_e64 v11, v11, v12, s5
	v_cmp_le_u32_e64 s5, s89, v9
	v_add_nc_u32_e32 v12, 1, v11
	v_cndmask_b32_e64 v9, v11, v12, s5
	v_ashrrev_i32_e32 v11, 31, v10
	v_xor_b32_e32 v11, s95, v11
	v_xor_b32_e32 v9, v9, v11
	v_sub_nc_u32_e32 v9, v9, v11
	v_mul_lo_u32 v11, v9, s48
	v_cmp_gt_i32_e64 s28, s57, v9
	v_cmp_eq_u32_e64 s6, v11, v10
	v_mul_lo_u32 v10, s70, v70
	v_ashrrev_i32_e32 v11, 31, v10
	v_lshlrev_b64 v[10:11], 2, v[10:11]
	v_add_co_u32 v73, s5, s10, v10
	v_or_b32_e32 v10, v23, v6
	v_add_co_ci_u32_e64 v74, null, s11, v11, s5
	v_or_b32_e32 v11, v10, v8
	v_cmp_lt_i32_e64 s7, -1, v11
	v_or_b32_e32 v11, v22, v6
	s_and_b32 s7, s77, s7
	v_or_b32_e32 v12, v11, v8
	s_and_b32 s98, s7, s34
	v_cmp_lt_i32_e64 s5, -1, v12
	v_or_b32_e32 v12, v24, v6
	s_and_b32 s7, s81, s5
	v_or_b32_e32 v13, v12, v8
	s_and_b32 s5, s56, s0
	s_and_b32 s99, s7, s34
	s_and_b32 s7, s56, vcc_lo
	v_cmp_lt_i32_e64 s8, -1, v13
	v_or_b32_e32 v13, v23, v4
	s_and_b32 s8, s82, s8
	v_or_b32_e32 v14, v13, v8
	s_and_b32 s37, s8, s34
	s_and_b32 s8, s56, s1
	;; [unrolled: 1-line block ×3, first 2 shown]
	v_cmp_lt_i32_e64 s12, -1, v14
	v_or_b32_e32 v14, v22, v4
	s_and_b32 s12, s94, s12
	v_or_b32_e32 v15, v14, v8
	s_and_b32 s104, s12, s34
	v_cmp_lt_i32_e64 s10, -1, v15
	v_or_b32_e32 v15, v24, v4
	s_and_b32 s12, s66, s10
	v_or_b32_e32 v16, v15, v8
	s_and_b32 vcc_hi, s12, s34
	s_and_b32 s10, s56, s0
	v_cmp_lt_i32_e64 s11, -1, v16
	v_or_b32_e32 v16, v23, v5
	s_and_b32 s12, s67, s11
	v_or_b32_e32 v17, v16, v8
	s_and_b32 s11, s56, vcc_lo
	s_and_b32 s36, s12, s34
	s_and_b32 s12, s56, s1
	;; [unrolled: 1-line block ×3, first 2 shown]
	v_cmp_lt_i32_e64 s30, -1, v17
	v_or_b32_e32 v17, v22, v5
	s_and_b32 s13, s56, s0
	s_and_b32 s30, s68, s30
	v_or_b32_e32 v18, v17, v8
	s_and_b32 s30, s30, s34
	v_cmp_lt_i32_e64 s14, -1, v18
	v_or_b32_e32 v18, v24, v5
	s_and_b32 s14, s92, s14
	v_or_b32_e32 v19, v18, v8
	s_and_b32 s42, s14, s34
	s_and_b32 s14, s56, vcc_lo
	v_cmp_lt_i32_e64 s15, -1, v19
	v_or_b32_e32 v19, v10, v7
	v_or_b32_e32 v10, v10, v9
	s_and_b32 s15, s93, s15
	v_cmp_lt_i32_e64 s18, -1, v19
	v_or_b32_e32 v19, v11, v7
	v_cmp_lt_i32_e64 s25, -1, v10
	v_or_b32_e32 v10, v11, v9
	v_or_b32_e32 v11, v16, v9
	s_and_b32 s18, s77, s18
	v_cmp_lt_i32_e64 s16, -1, v19
	v_or_b32_e32 v19, v12, v7
	;; [unrolled: 6-line block ×3, first 2 shown]
	v_cmp_lt_i32_e64 s29, -1, v10
	v_or_b32_e32 v10, v13, v9
	v_mul_lo_u32 v13, v8, s58
	s_and_b32 s18, s81, s16
	v_cmp_lt_i32_e64 s21, -1, v19
	v_or_b32_e32 v19, v14, v7
	v_cmp_lt_i32_e64 s27, -1, v10
	v_or_b32_e32 v10, v14, v9
	s_and_b32 s34, s15, s34
	s_and_b32 s15, s56, s1
	v_cmp_lt_i32_e64 s19, -1, v19
	v_or_b32_e32 v19, v15, v7
	v_mul_lo_u32 v15, v7, s58
	v_cmp_lt_i32_e64 s31, -1, v10
	v_or_b32_e32 v10, v17, v9
	v_add_nc_u32_e32 v8, v4, v13
	v_cmp_lt_i32_e64 s20, -1, v19
	v_or_b32_e32 v19, v16, v7
	v_mul_lo_u32 v16, v9, s58
	v_add_nc_u32_e32 v14, v5, v13
	v_add_nc_u32_e32 v20, v6, v15
	;; [unrolled: 1-line block ×3, first 2 shown]
	v_cmp_lt_i32_e64 s23, -1, v19
	v_or_b32_e32 v19, v17, v7
	v_add_nc_u32_e32 v29, v4, v15
	v_mul_lo_u32 v34, v20, s59
	v_add_nc_u32_e32 v27, v6, v16
	v_add_nc_u32_e32 v26, v4, v16
	v_cmp_lt_i32_e64 s22, -1, v19
	v_or_b32_e32 v19, v18, v7
	v_or_b32_e32 v7, v18, v9
	v_add_nc_u32_e32 v9, v6, v13
	v_add_nc_u32_e32 v25, v5, v16
	v_mul_lo_u32 v28, v28, s59
	v_mul_lo_u32 v27, v27, s59
	;; [unrolled: 1-line block ×8, first 2 shown]
	v_cmp_lt_i32_e64 s24, -1, v19
	s_and_b32 s23, s68, s23
	s_and_b32 s56, s9, s4
	v_add_nc_u32_e32 v30, v23, v34
	s_and_b32 s43, s18, s33
	v_add_nc_u32_e32 v32, v22, v34
	;; [unrolled: 2-line block ×3, first 2 shown]
	s_and_b32 s21, s94, s21
	s_and_b32 s85, s23, s33
	v_add_nc_u32_e32 v42, v23, v28
	s_and_b32 s23, s93, s24
	s_and_b32 s24, s77, s25
	v_add_nc_u32_e32 v50, v22, v27
	v_add_nc_u32_e32 v58, v24, v26
	v_cmp_lt_i32_e64 s40, -1, v12
	v_cmp_lt_i32_e64 s38, -1, v10
	v_add_nc_u32_e32 v4, v23, v9
	v_add_nc_u32_e32 v6, v22, v9
	v_add_nc_u32_e32 v8, v24, v9
	v_add_nc_u32_e32 v10, v23, v15
	v_add_nc_u32_e32 v12, v22, v15
	v_add_nc_u32_e32 v14, v24, v15
	v_add_nc_u32_e32 v16, v23, v21
	v_add_nc_u32_e32 v18, v22, v21
	v_add_nc_u32_e32 v20, v24, v21
	s_and_b32 s16, s56, s0
	s_and_b32 s17, s56, vcc_lo
	s_and_b32 s44, s18, s33
	s_and_b32 s18, s56, s1
	;; [unrolled: 1-line block ×3, first 2 shown]
	v_add_nc_u32_e32 v36, v23, v29
	s_and_b32 s21, s66, s19
	v_add_nc_u32_e32 v38, v22, v29
	v_add_nc_u32_e32 v40, v24, v29
	;; [unrolled: 1-line block ×4, first 2 shown]
	s_and_b32 s77, s24, s28
	v_add_nc_u32_e32 v48, v23, v27
	s_and_b32 s24, s81, s26
	s_and_b32 s26, s82, s29
	v_add_nc_u32_e32 v52, v24, v27
	v_add_nc_u32_e32 v54, v23, v26
	;; [unrolled: 1-line block ×6, first 2 shown]
	s_and_b32 s83, s21, s33
	s_and_b32 s21, s67, s20
	;; [unrolled: 1-line block ×4, first 2 shown]
	v_ashrrev_i32_e32 v35, 31, v34
	v_ashrrev_i32_e32 v43, 31, v42
	;; [unrolled: 1-line block ×4, first 2 shown]
	s_and_b32 s19, s69, s0
	s_and_b32 s20, s69, vcc_lo
	s_and_b32 s84, s21, s33
	s_and_b32 s21, s69, s1
	;; [unrolled: 1-line block ×9, first 2 shown]
	v_cmp_lt_i32_e64 s41, -1, v11
	v_cmp_lt_i32_e64 s39, -1, v7
	v_ashrrev_i32_e32 v5, 31, v4
	v_ashrrev_i32_e32 v7, 31, v6
	;; [unrolled: 1-line block ×23, first 2 shown]
	s_and_b32 s9, s69, s0
	s_and_b32 s79, s22, s33
	s_and_b32 s22, s69, vcc_lo
	s_and_b32 s33, s23, s33
	s_and_b32 s23, s69, s1
	;; [unrolled: 1-line block ×4, first 2 shown]
	s_and_b32 s24, s25, vcc_lo
	s_and_b32 s25, s25, s1
	s_and_b32 s3, s27, s0
	;; [unrolled: 1-line block ×3, first 2 shown]
	s_and_b32 s26, s27, vcc_lo
	s_and_b32 s27, s27, s1
	s_and_b32 s0, s2, s0
	s_and_b32 vcc_lo, s2, vcc_lo
	s_and_b32 s1, s2, s1
	s_mul_i32 s2, s71, s80
	v_lshlrev_b64 v[26:27], 2, v[34:35]
	v_lshlrev_b64 v[34:35], 2, v[42:43]
	;; [unrolled: 1-line block ×4, first 2 shown]
	v_mul_lo_u32 v58, s2, v71
	v_lshlrev_b64 v[4:5], 2, v[4:5]
	v_lshlrev_b64 v[6:7], 2, v[6:7]
	;; [unrolled: 1-line block ×23, first 2 shown]
	v_add_nc_u32_e32 v76, s80, v72
	v_mov_b32_e32 v75, 0
	s_and_b32 s40, s67, s40
	s_and_b32 s41, s68, s41
	;; [unrolled: 1-line block ×6, first 2 shown]
	s_mov_b32 s41, 0
	s_and_b32 s38, s38, s28
	s_and_b32 s28, s39, s28
	s_branch .LBB20_7
.LBB20_6:                               ;   in Loop: Header=BB20_7 Depth=2
	s_or_b32 exec_lo, exec_lo, s39
	s_waitcnt vmcnt(26)
	v_fma_f32 v59, v77, v59, v75
	v_add_nc_u32_e32 v72, 1, v72
	v_add_co_u32 v2, s2, 0x6c, v2
	v_add_co_ci_u32_e64 v3, null, 0, v3, s2
	v_cndmask_b32_e64 v59, v75, v59, s5
	v_cmp_ge_i32_e64 s2, v72, v76
	v_add_nc_u32_e32 v58, s71, v58
	s_waitcnt vmcnt(25)
	v_fma_f32 v75, v80, v82, v59
	s_or_b32 s41, s2, s41
	v_cndmask_b32_e64 v59, v59, v75, s7
	s_waitcnt vmcnt(24)
	v_fma_f32 v75, v83, v81, v59
	v_cndmask_b32_e64 v59, v59, v75, s8
	s_waitcnt vmcnt(23)
	v_fma_f32 v75, v84, v86, v59
	;; [unrolled: 3-line block ×24, first 2 shown]
	v_cndmask_b32_e32 v59, v59, v60, vcc_lo
	s_waitcnt vmcnt(0)
	v_fma_f32 v60, v64, v62, v59
	v_cndmask_b32_e64 v75, v59, v60, s1
	s_andn2_b32 exec_lo, exec_lo, s41
	s_cbranch_execz .LBB20_2
.LBB20_7:                               ;   Parent Loop BB20_4 Depth=1
                                        ; =>  This Inner Loop Header: Depth=2
	global_load_dword v77, v[2:3], off
	v_ashrrev_i32_e32 v59, 31, v58
	v_lshlrev_b64 v[59:60], 2, v[58:59]
	v_add_co_u32 v78, s2, v73, v59
	v_add_co_ci_u32_e64 v79, null, v74, v60, s2
	v_mov_b32_e32 v59, 0
	s_and_saveexec_b32 s39, s98
	s_cbranch_execz .LBB20_9
; %bb.8:                                ;   in Loop: Header=BB20_7 Depth=2
	v_add_co_u32 v59, s2, v78, v4
	v_add_co_ci_u32_e64 v60, null, v79, v5, s2
	global_load_dword v59, v[59:60], off
.LBB20_9:                               ;   in Loop: Header=BB20_7 Depth=2
	s_or_b32 exec_lo, exec_lo, s39
	global_load_dword v80, v[2:3], off offset:4
	v_mov_b32_e32 v81, 0
	v_mov_b32_e32 v82, 0
	s_and_saveexec_b32 s39, s99
	s_cbranch_execz .LBB20_11
; %bb.10:                               ;   in Loop: Header=BB20_7 Depth=2
	v_add_co_u32 v60, s2, v78, v6
	v_add_co_ci_u32_e64 v61, null, v79, v7, s2
	global_load_dword v82, v[60:61], off
.LBB20_11:                              ;   in Loop: Header=BB20_7 Depth=2
	s_or_b32 exec_lo, exec_lo, s39
	global_load_dword v83, v[2:3], off offset:8
	s_and_saveexec_b32 s39, s37
	s_cbranch_execz .LBB20_13
; %bb.12:                               ;   in Loop: Header=BB20_7 Depth=2
	v_add_co_u32 v60, s2, v78, v8
	v_add_co_ci_u32_e64 v61, null, v79, v9, s2
	global_load_dword v81, v[60:61], off
.LBB20_13:                              ;   in Loop: Header=BB20_7 Depth=2
	s_or_b32 exec_lo, exec_lo, s39
	global_load_dword v84, v[2:3], off offset:12
	v_mov_b32_e32 v85, 0
	v_mov_b32_e32 v86, 0
	s_and_saveexec_b32 s39, s104
	s_cbranch_execz .LBB20_15
; %bb.14:                               ;   in Loop: Header=BB20_7 Depth=2
	v_add_co_u32 v60, s2, v78, v10
	v_add_co_ci_u32_e64 v61, null, v79, v11, s2
	global_load_dword v86, v[60:61], off
.LBB20_15:                              ;   in Loop: Header=BB20_7 Depth=2
	s_or_b32 exec_lo, exec_lo, s39
	global_load_dword v87, v[2:3], off offset:16
	s_and_saveexec_b32 s39, vcc_hi
	s_cbranch_execz .LBB20_17
; %bb.16:                               ;   in Loop: Header=BB20_7 Depth=2
	v_add_co_u32 v60, s2, v78, v12
	v_add_co_ci_u32_e64 v61, null, v79, v13, s2
	global_load_dword v85, v[60:61], off
.LBB20_17:                              ;   in Loop: Header=BB20_7 Depth=2
	s_or_b32 exec_lo, exec_lo, s39
	global_load_dword v88, v[2:3], off offset:20
	v_mov_b32_e32 v89, 0
	v_mov_b32_e32 v90, 0
	s_and_saveexec_b32 s39, s36
	s_cbranch_execz .LBB20_19
; %bb.18:                               ;   in Loop: Header=BB20_7 Depth=2
	v_add_co_u32 v60, s2, v78, v14
	v_add_co_ci_u32_e64 v61, null, v79, v15, s2
	global_load_dword v90, v[60:61], off
.LBB20_19:                              ;   in Loop: Header=BB20_7 Depth=2
	s_or_b32 exec_lo, exec_lo, s39
	global_load_dword v91, v[2:3], off offset:24
	s_and_saveexec_b32 s39, s30
	s_cbranch_execz .LBB20_21
; %bb.20:                               ;   in Loop: Header=BB20_7 Depth=2
	v_add_co_u32 v60, s2, v78, v16
	v_add_co_ci_u32_e64 v61, null, v79, v17, s2
	global_load_dword v89, v[60:61], off
.LBB20_21:                              ;   in Loop: Header=BB20_7 Depth=2
	s_or_b32 exec_lo, exec_lo, s39
	global_load_dword v92, v[2:3], off offset:28
	v_mov_b32_e32 v93, 0
	v_mov_b32_e32 v94, 0
	s_and_saveexec_b32 s39, s42
	s_cbranch_execz .LBB20_23
; %bb.22:                               ;   in Loop: Header=BB20_7 Depth=2
	v_add_co_u32 v60, s2, v78, v18
	v_add_co_ci_u32_e64 v61, null, v79, v19, s2
	global_load_dword v94, v[60:61], off
.LBB20_23:                              ;   in Loop: Header=BB20_7 Depth=2
	s_or_b32 exec_lo, exec_lo, s39
	global_load_dword v95, v[2:3], off offset:32
	s_and_saveexec_b32 s39, s34
	;; [unrolled: 20-line block ×11, first 2 shown]
	s_cbranch_execz .LBB20_6
; %bb.60:                               ;   in Loop: Header=BB20_7 Depth=2
	v_add_co_u32 v78, s2, v78, v56
	v_add_co_ci_u32_e64 v79, null, v79, v57, s2
	global_load_dword v62, v[78:79], off
	s_branch .LBB20_6
.LBB20_61:                              ;   in Loop: Header=BB20_4 Depth=1
	v_mov_b32_e32 v75, 0
	s_branch .LBB20_3
.LBB20_62:
	s_endpgm
	.section	.rodata,"a",@progbits
	.p2align	6, 0x0
	.amdhsa_kernel _ZN2at6native12_GLOBAL__N_143conv_depthwise3d_cuda_backward_input_kernelIffLi3ELi3ELi3ELin1ELin1ELin1ELin1ELin1ELin1EEEvN5torch10headeronly6detail27GenericPackedTensorAccessorINS5_14TensorAccessorIN3c108ArrayRefIlEEKT_Lm4ENS4_16DefaultPtrTraitsEiEENS_6detail16IndexBoundsCheckILm5EiEESC_Lm5ESD_iEENS6_INS7_ISA_SB_Lm4ESD_iEESH_SB_Lm5ESD_iEESI_iiiiiiiii
		.amdhsa_group_segment_fixed_size 0
		.amdhsa_private_segment_fixed_size 24
		.amdhsa_kernarg_size 440
		.amdhsa_user_sgpr_count 6
		.amdhsa_user_sgpr_private_segment_buffer 1
		.amdhsa_user_sgpr_dispatch_ptr 0
		.amdhsa_user_sgpr_queue_ptr 0
		.amdhsa_user_sgpr_kernarg_segment_ptr 1
		.amdhsa_user_sgpr_dispatch_id 0
		.amdhsa_user_sgpr_flat_scratch_init 0
		.amdhsa_user_sgpr_private_segment_size 0
		.amdhsa_wavefront_size32 1
		.amdhsa_uses_dynamic_stack 0
		.amdhsa_system_sgpr_private_segment_wavefront_offset 1
		.amdhsa_system_sgpr_workgroup_id_x 1
		.amdhsa_system_sgpr_workgroup_id_y 0
		.amdhsa_system_sgpr_workgroup_id_z 0
		.amdhsa_system_sgpr_workgroup_info 0
		.amdhsa_system_vgpr_workitem_id 0
		.amdhsa_next_free_vgpr 128
		.amdhsa_next_free_sgpr 105
		.amdhsa_reserve_vcc 1
		.amdhsa_reserve_flat_scratch 0
		.amdhsa_float_round_mode_32 0
		.amdhsa_float_round_mode_16_64 0
		.amdhsa_float_denorm_mode_32 3
		.amdhsa_float_denorm_mode_16_64 3
		.amdhsa_dx10_clamp 1
		.amdhsa_ieee_mode 1
		.amdhsa_fp16_overflow 0
		.amdhsa_workgroup_processor_mode 1
		.amdhsa_memory_ordered 1
		.amdhsa_forward_progress 1
		.amdhsa_shared_vgpr_count 0
		.amdhsa_exception_fp_ieee_invalid_op 0
		.amdhsa_exception_fp_denorm_src 0
		.amdhsa_exception_fp_ieee_div_zero 0
		.amdhsa_exception_fp_ieee_overflow 0
		.amdhsa_exception_fp_ieee_underflow 0
		.amdhsa_exception_fp_ieee_inexact 0
		.amdhsa_exception_int_div_zero 0
	.end_amdhsa_kernel
	.section	.text._ZN2at6native12_GLOBAL__N_143conv_depthwise3d_cuda_backward_input_kernelIffLi3ELi3ELi3ELin1ELin1ELin1ELin1ELin1ELin1EEEvN5torch10headeronly6detail27GenericPackedTensorAccessorINS5_14TensorAccessorIN3c108ArrayRefIlEEKT_Lm4ENS4_16DefaultPtrTraitsEiEENS_6detail16IndexBoundsCheckILm5EiEESC_Lm5ESD_iEENS6_INS7_ISA_SB_Lm4ESD_iEESH_SB_Lm5ESD_iEESI_iiiiiiiii,"axG",@progbits,_ZN2at6native12_GLOBAL__N_143conv_depthwise3d_cuda_backward_input_kernelIffLi3ELi3ELi3ELin1ELin1ELin1ELin1ELin1ELin1EEEvN5torch10headeronly6detail27GenericPackedTensorAccessorINS5_14TensorAccessorIN3c108ArrayRefIlEEKT_Lm4ENS4_16DefaultPtrTraitsEiEENS_6detail16IndexBoundsCheckILm5EiEESC_Lm5ESD_iEENS6_INS7_ISA_SB_Lm4ESD_iEESH_SB_Lm5ESD_iEESI_iiiiiiiii,comdat
.Lfunc_end20:
	.size	_ZN2at6native12_GLOBAL__N_143conv_depthwise3d_cuda_backward_input_kernelIffLi3ELi3ELi3ELin1ELin1ELin1ELin1ELin1ELin1EEEvN5torch10headeronly6detail27GenericPackedTensorAccessorINS5_14TensorAccessorIN3c108ArrayRefIlEEKT_Lm4ENS4_16DefaultPtrTraitsEiEENS_6detail16IndexBoundsCheckILm5EiEESC_Lm5ESD_iEENS6_INS7_ISA_SB_Lm4ESD_iEESH_SB_Lm5ESD_iEESI_iiiiiiiii, .Lfunc_end20-_ZN2at6native12_GLOBAL__N_143conv_depthwise3d_cuda_backward_input_kernelIffLi3ELi3ELi3ELin1ELin1ELin1ELin1ELin1ELin1EEEvN5torch10headeronly6detail27GenericPackedTensorAccessorINS5_14TensorAccessorIN3c108ArrayRefIlEEKT_Lm4ENS4_16DefaultPtrTraitsEiEENS_6detail16IndexBoundsCheckILm5EiEESC_Lm5ESD_iEENS6_INS7_ISA_SB_Lm4ESD_iEESH_SB_Lm5ESD_iEESI_iiiiiiiii
                                        ; -- End function
	.set _ZN2at6native12_GLOBAL__N_143conv_depthwise3d_cuda_backward_input_kernelIffLi3ELi3ELi3ELin1ELin1ELin1ELin1ELin1ELin1EEEvN5torch10headeronly6detail27GenericPackedTensorAccessorINS5_14TensorAccessorIN3c108ArrayRefIlEEKT_Lm4ENS4_16DefaultPtrTraitsEiEENS_6detail16IndexBoundsCheckILm5EiEESC_Lm5ESD_iEENS6_INS7_ISA_SB_Lm4ESD_iEESH_SB_Lm5ESD_iEESI_iiiiiiiii.num_vgpr, 128
	.set _ZN2at6native12_GLOBAL__N_143conv_depthwise3d_cuda_backward_input_kernelIffLi3ELi3ELi3ELin1ELin1ELin1ELin1ELin1ELin1EEEvN5torch10headeronly6detail27GenericPackedTensorAccessorINS5_14TensorAccessorIN3c108ArrayRefIlEEKT_Lm4ENS4_16DefaultPtrTraitsEiEENS_6detail16IndexBoundsCheckILm5EiEESC_Lm5ESD_iEENS6_INS7_ISA_SB_Lm4ESD_iEESH_SB_Lm5ESD_iEESI_iiiiiiiii.num_agpr, 0
	.set _ZN2at6native12_GLOBAL__N_143conv_depthwise3d_cuda_backward_input_kernelIffLi3ELi3ELi3ELin1ELin1ELin1ELin1ELin1ELin1EEEvN5torch10headeronly6detail27GenericPackedTensorAccessorINS5_14TensorAccessorIN3c108ArrayRefIlEEKT_Lm4ENS4_16DefaultPtrTraitsEiEENS_6detail16IndexBoundsCheckILm5EiEESC_Lm5ESD_iEENS6_INS7_ISA_SB_Lm4ESD_iEESH_SB_Lm5ESD_iEESI_iiiiiiiii.numbered_sgpr, 105
	.set _ZN2at6native12_GLOBAL__N_143conv_depthwise3d_cuda_backward_input_kernelIffLi3ELi3ELi3ELin1ELin1ELin1ELin1ELin1ELin1EEEvN5torch10headeronly6detail27GenericPackedTensorAccessorINS5_14TensorAccessorIN3c108ArrayRefIlEEKT_Lm4ENS4_16DefaultPtrTraitsEiEENS_6detail16IndexBoundsCheckILm5EiEESC_Lm5ESD_iEENS6_INS7_ISA_SB_Lm4ESD_iEESH_SB_Lm5ESD_iEESI_iiiiiiiii.num_named_barrier, 0
	.set _ZN2at6native12_GLOBAL__N_143conv_depthwise3d_cuda_backward_input_kernelIffLi3ELi3ELi3ELin1ELin1ELin1ELin1ELin1ELin1EEEvN5torch10headeronly6detail27GenericPackedTensorAccessorINS5_14TensorAccessorIN3c108ArrayRefIlEEKT_Lm4ENS4_16DefaultPtrTraitsEiEENS_6detail16IndexBoundsCheckILm5EiEESC_Lm5ESD_iEENS6_INS7_ISA_SB_Lm4ESD_iEESH_SB_Lm5ESD_iEESI_iiiiiiiii.private_seg_size, 24
	.set _ZN2at6native12_GLOBAL__N_143conv_depthwise3d_cuda_backward_input_kernelIffLi3ELi3ELi3ELin1ELin1ELin1ELin1ELin1ELin1EEEvN5torch10headeronly6detail27GenericPackedTensorAccessorINS5_14TensorAccessorIN3c108ArrayRefIlEEKT_Lm4ENS4_16DefaultPtrTraitsEiEENS_6detail16IndexBoundsCheckILm5EiEESC_Lm5ESD_iEENS6_INS7_ISA_SB_Lm4ESD_iEESH_SB_Lm5ESD_iEESI_iiiiiiiii.uses_vcc, 1
	.set _ZN2at6native12_GLOBAL__N_143conv_depthwise3d_cuda_backward_input_kernelIffLi3ELi3ELi3ELin1ELin1ELin1ELin1ELin1ELin1EEEvN5torch10headeronly6detail27GenericPackedTensorAccessorINS5_14TensorAccessorIN3c108ArrayRefIlEEKT_Lm4ENS4_16DefaultPtrTraitsEiEENS_6detail16IndexBoundsCheckILm5EiEESC_Lm5ESD_iEENS6_INS7_ISA_SB_Lm4ESD_iEESH_SB_Lm5ESD_iEESI_iiiiiiiii.uses_flat_scratch, 0
	.set _ZN2at6native12_GLOBAL__N_143conv_depthwise3d_cuda_backward_input_kernelIffLi3ELi3ELi3ELin1ELin1ELin1ELin1ELin1ELin1EEEvN5torch10headeronly6detail27GenericPackedTensorAccessorINS5_14TensorAccessorIN3c108ArrayRefIlEEKT_Lm4ENS4_16DefaultPtrTraitsEiEENS_6detail16IndexBoundsCheckILm5EiEESC_Lm5ESD_iEENS6_INS7_ISA_SB_Lm4ESD_iEESH_SB_Lm5ESD_iEESI_iiiiiiiii.has_dyn_sized_stack, 0
	.set _ZN2at6native12_GLOBAL__N_143conv_depthwise3d_cuda_backward_input_kernelIffLi3ELi3ELi3ELin1ELin1ELin1ELin1ELin1ELin1EEEvN5torch10headeronly6detail27GenericPackedTensorAccessorINS5_14TensorAccessorIN3c108ArrayRefIlEEKT_Lm4ENS4_16DefaultPtrTraitsEiEENS_6detail16IndexBoundsCheckILm5EiEESC_Lm5ESD_iEENS6_INS7_ISA_SB_Lm4ESD_iEESH_SB_Lm5ESD_iEESI_iiiiiiiii.has_recursion, 0
	.set _ZN2at6native12_GLOBAL__N_143conv_depthwise3d_cuda_backward_input_kernelIffLi3ELi3ELi3ELin1ELin1ELin1ELin1ELin1ELin1EEEvN5torch10headeronly6detail27GenericPackedTensorAccessorINS5_14TensorAccessorIN3c108ArrayRefIlEEKT_Lm4ENS4_16DefaultPtrTraitsEiEENS_6detail16IndexBoundsCheckILm5EiEESC_Lm5ESD_iEENS6_INS7_ISA_SB_Lm4ESD_iEESH_SB_Lm5ESD_iEESI_iiiiiiiii.has_indirect_call, 0
	.section	.AMDGPU.csdata,"",@progbits
; Kernel info:
; codeLenInByte = 6040
; TotalNumSgprs: 107
; NumVgprs: 128
; ScratchSize: 24
; MemoryBound: 0
; FloatMode: 240
; IeeeMode: 1
; LDSByteSize: 0 bytes/workgroup (compile time only)
; SGPRBlocks: 0
; VGPRBlocks: 15
; NumSGPRsForWavesPerEU: 107
; NumVGPRsForWavesPerEU: 128
; Occupancy: 8
; WaveLimiterHint : 0
; COMPUTE_PGM_RSRC2:SCRATCH_EN: 1
; COMPUTE_PGM_RSRC2:USER_SGPR: 6
; COMPUTE_PGM_RSRC2:TRAP_HANDLER: 0
; COMPUTE_PGM_RSRC2:TGID_X_EN: 1
; COMPUTE_PGM_RSRC2:TGID_Y_EN: 0
; COMPUTE_PGM_RSRC2:TGID_Z_EN: 0
; COMPUTE_PGM_RSRC2:TIDIG_COMP_CNT: 0
	.section	.text._ZN2at6native12_GLOBAL__N_143conv_depthwise3d_cuda_backward_input_kernelIffLin1ELin1ELin1ELin1ELin1ELin1ELin1ELin1ELin1EEEvN5torch10headeronly6detail27GenericPackedTensorAccessorINS5_14TensorAccessorIN3c108ArrayRefIlEEKT_Lm4ENS4_16DefaultPtrTraitsEiEENS_6detail16IndexBoundsCheckILm5EiEESC_Lm5ESD_iEENS6_INS7_ISA_SB_Lm4ESD_iEESH_SB_Lm5ESD_iEESI_iiiiiiiii,"axG",@progbits,_ZN2at6native12_GLOBAL__N_143conv_depthwise3d_cuda_backward_input_kernelIffLin1ELin1ELin1ELin1ELin1ELin1ELin1ELin1ELin1EEEvN5torch10headeronly6detail27GenericPackedTensorAccessorINS5_14TensorAccessorIN3c108ArrayRefIlEEKT_Lm4ENS4_16DefaultPtrTraitsEiEENS_6detail16IndexBoundsCheckILm5EiEESC_Lm5ESD_iEENS6_INS7_ISA_SB_Lm4ESD_iEESH_SB_Lm5ESD_iEESI_iiiiiiiii,comdat
	.globl	_ZN2at6native12_GLOBAL__N_143conv_depthwise3d_cuda_backward_input_kernelIffLin1ELin1ELin1ELin1ELin1ELin1ELin1ELin1ELin1EEEvN5torch10headeronly6detail27GenericPackedTensorAccessorINS5_14TensorAccessorIN3c108ArrayRefIlEEKT_Lm4ENS4_16DefaultPtrTraitsEiEENS_6detail16IndexBoundsCheckILm5EiEESC_Lm5ESD_iEENS6_INS7_ISA_SB_Lm4ESD_iEESH_SB_Lm5ESD_iEESI_iiiiiiiii ; -- Begin function _ZN2at6native12_GLOBAL__N_143conv_depthwise3d_cuda_backward_input_kernelIffLin1ELin1ELin1ELin1ELin1ELin1ELin1ELin1ELin1EEEvN5torch10headeronly6detail27GenericPackedTensorAccessorINS5_14TensorAccessorIN3c108ArrayRefIlEEKT_Lm4ENS4_16DefaultPtrTraitsEiEENS_6detail16IndexBoundsCheckILm5EiEESC_Lm5ESD_iEENS6_INS7_ISA_SB_Lm4ESD_iEESH_SB_Lm5ESD_iEESI_iiiiiiiii
	.p2align	8
	.type	_ZN2at6native12_GLOBAL__N_143conv_depthwise3d_cuda_backward_input_kernelIffLin1ELin1ELin1ELin1ELin1ELin1ELin1ELin1ELin1EEEvN5torch10headeronly6detail27GenericPackedTensorAccessorINS5_14TensorAccessorIN3c108ArrayRefIlEEKT_Lm4ENS4_16DefaultPtrTraitsEiEENS_6detail16IndexBoundsCheckILm5EiEESC_Lm5ESD_iEENS6_INS7_ISA_SB_Lm4ESD_iEESH_SB_Lm5ESD_iEESI_iiiiiiiii,@function
_ZN2at6native12_GLOBAL__N_143conv_depthwise3d_cuda_backward_input_kernelIffLin1ELin1ELin1ELin1ELin1ELin1ELin1ELin1ELin1EEEvN5torch10headeronly6detail27GenericPackedTensorAccessorINS5_14TensorAccessorIN3c108ArrayRefIlEEKT_Lm4ENS4_16DefaultPtrTraitsEiEENS_6detail16IndexBoundsCheckILm5EiEESC_Lm5ESD_iEENS6_INS7_ISA_SB_Lm4ESD_iEESH_SB_Lm5ESD_iEESI_iiiiiiiii: ; @_ZN2at6native12_GLOBAL__N_143conv_depthwise3d_cuda_backward_input_kernelIffLin1ELin1ELin1ELin1ELin1ELin1ELin1ELin1ELin1EEEvN5torch10headeronly6detail27GenericPackedTensorAccessorINS5_14TensorAccessorIN3c108ArrayRefIlEEKT_Lm4ENS4_16DefaultPtrTraitsEiEENS_6detail16IndexBoundsCheckILm5EiEESC_Lm5ESD_iEENS6_INS7_ISA_SB_Lm4ESD_iEESH_SB_Lm5ESD_iEESI_iiiiiiiii
; %bb.0:
	s_clause 0x2
	s_load_dwordx4 s[16:19], s[4:5], 0x38
	s_load_dword s2, s[4:5], 0xc4
	s_load_dwordx2 s[34:35], s[4:5], 0x48
	s_mov_b32 s8, exec_lo
	s_waitcnt lgkmcnt(0)
	s_abs_i32 s33, s17
	s_add_u32 s0, s4, 0xb8
	v_cvt_f32_u32_e32 v1, s33
	s_addc_u32 s1, s5, 0
	s_and_b32 s2, s2, 0xffff
	v_rcp_iflag_f32_e32 v2, v1
	v_mov_b32_e32 v1, 0
	v_mad_u64_u32 v[0:1], null, s2, s6, v[0:1]
	s_mul_i32 s6, s35, s16
	s_ashr_i32 s7, s6, 31
	v_mul_f32_e32 v2, 0x4f7ffffe, v2
	v_cvt_u32_f32_e32 v2, v2
	v_readfirstlane_b32 s3, v2
	v_cmpx_gt_i64_e64 s[6:7], v[0:1]
	s_cbranch_execz .LBB21_19
; %bb.1:
	s_clause 0x1
	s_load_dwordx4 s[20:23], s[4:5], 0xc
	s_load_dwordx2 s[36:37], s[4:5], 0x0
	s_sub_i32 s28, 0, s33
	s_load_dwordx4 s[24:27], s[4:5], 0x70
	s_mul_i32 s8, s28, s3
	s_ashr_i32 s16, s17, 31
	s_mul_hi_u32 s8, s3, s8
	s_load_dword s0, s[0:1], 0x0
	s_add_i32 s3, s3, s8
	v_mul_lo_u32 v3, s28, v2
	s_clause 0x1
	s_load_dwordx2 s[38:39], s[4:5], 0x1c
	s_load_dwordx2 s[40:41], s[4:5], 0x30
	s_mov_b32 s44, 0
	v_mul_hi_u32 v3, v2, v3
	s_waitcnt lgkmcnt(0)
	s_abs_i32 s8, s20
	s_ashr_i32 s9, s20, 31
	s_mul_hi_u32 s3, s8, s3
	s_xor_b32 s29, s9, s16
	s_mul_i32 s10, s3, s33
	s_add_i32 s27, s3, 1
	s_sub_i32 s20, s8, s10
	s_load_dwordx8 s[8:15], s[4:5], 0x90
	s_sub_i32 s30, s20, s33
	s_cmp_ge_u32 s20, s33
	s_cselect_b32 s3, s27, s3
	s_cselect_b32 s20, s30, s20
	s_add_i32 s27, s3, 1
	s_cmp_ge_u32 s20, s33
	s_load_dword s20, s[4:5], 0xb0
	s_cselect_b32 s3, s27, s3
	s_load_dword s27, s[4:5], 0x7c
	s_xor_b32 s1, s3, s29
	s_sub_i32 s45, s1, s29
	s_cmp_gt_i32 s24, 0
	s_clause 0x1
	s_load_dwordx2 s[42:43], s[4:5], 0x60
	s_load_dwordx4 s[28:31], s[4:5], 0x50
	s_cselect_b32 s46, -1, 0
	s_cmp_gt_i32 s25, 0
	s_cselect_b32 s47, -1, 0
	s_cmp_gt_i32 s26, 0
	;; [unrolled: 2-line block ×3, first 2 shown]
	s_cselect_b32 s49, -1, 0
	s_abs_i32 s50, s34
	s_abs_i32 s51, s19
	v_cvt_f32_u32_e32 v4, s50
	s_abs_i32 s52, s18
	s_waitcnt lgkmcnt(0)
	s_abs_i32 s53, s8
	s_abs_i32 s54, s9
	;; [unrolled: 1-line block ×3, first 2 shown]
	v_rcp_iflag_f32_e32 v4, v4
	v_cvt_f32_u32_e32 v5, s51
	v_cvt_f32_u32_e32 v6, s52
	;; [unrolled: 1-line block ×5, first 2 shown]
	v_rcp_iflag_f32_e32 v5, v5
	v_rcp_iflag_f32_e32 v6, v6
	;; [unrolled: 1-line block ×5, first 2 shown]
	v_mul_f32_e32 v4, 0x4f7ffffe, v4
	s_sub_i32 s1, 0, s50
	s_sub_i32 s3, 0, s51
	;; [unrolled: 1-line block ×4, first 2 shown]
	v_cvt_u32_f32_e32 v4, v4
	v_mul_f32_e32 v5, 0x4f7ffffe, v5
	v_mul_f32_e32 v6, 0x4f7ffffe, v6
	;; [unrolled: 1-line block ×5, first 2 shown]
	v_mul_lo_u32 v10, s1, v4
	v_cvt_u32_f32_e32 v5, v5
	v_cvt_u32_f32_e32 v6, v6
	;; [unrolled: 1-line block ×5, first 2 shown]
	s_sub_i32 s56, 0, s54
	s_sub_i32 s57, 0, s55
	v_mul_lo_u32 v7, s3, v5
	v_mul_lo_u32 v8, s4, v6
	;; [unrolled: 1-line block ×4, first 2 shown]
	v_mul_hi_u32 v10, v4, v10
	v_mul_lo_u32 v15, s57, v13
	s_mul_i32 s56, s0, s2
	s_ashr_i32 s57, s34, 31
	v_mul_hi_u32 v7, v5, v7
	v_mul_hi_u32 v8, v6, v8
	;; [unrolled: 1-line block ×4, first 2 shown]
	v_add_nc_u32_e32 v4, v4, v10
	v_mul_hi_u32 v10, v13, v15
	s_ashr_i32 s58, s19, 31
	s_ashr_i32 s59, s18, 31
	v_add_nc_u32_e32 v5, v5, v7
	v_add_nc_u32_e32 v6, v6, v8
	;; [unrolled: 1-line block ×6, first 2 shown]
	s_ashr_i32 s60, s8, 31
	s_ashr_i32 s61, s9, 31
	;; [unrolled: 1-line block ×3, first 2 shown]
	s_branch .LBB21_4
.LBB21_2:                               ;   in Loop: Header=BB21_4 Depth=1
	s_or_b32 exec_lo, exec_lo, s63
.LBB21_3:                               ;   in Loop: Header=BB21_4 Depth=1
	v_mul_lo_u32 v2, v15, s35
	v_mul_lo_u32 v15, s28, v16
	;; [unrolled: 1-line block ×4, first 2 shown]
	v_add_co_u32 v0, vcc_lo, v0, s56
	v_mul_lo_u32 v19, s31, v11
	v_add_co_ci_u32_e64 v1, null, 0, v1, vcc_lo
	v_ashrrev_i32_e32 v3, 31, v2
	v_ashrrev_i32_e32 v16, 31, v15
	;; [unrolled: 1-line block ×4, first 2 shown]
	v_lshlrev_b64 v[2:3], 2, v[2:3]
	v_lshlrev_b64 v[15:16], 2, v[15:16]
	v_ashrrev_i32_e32 v20, 31, v19
	v_lshlrev_b64 v[13:14], 2, v[13:14]
	v_add_co_u32 v11, vcc_lo, s40, v2
	v_add_co_ci_u32_e64 v21, null, s41, v3, vcc_lo
	v_lshlrev_b64 v[2:3], 2, v[17:18]
	v_add_co_u32 v11, vcc_lo, v11, v15
	v_add_co_ci_u32_e64 v15, null, v21, v16, vcc_lo
	v_add_co_u32 v11, vcc_lo, v11, v2
	v_add_co_ci_u32_e64 v15, null, v15, v3, vcc_lo
	v_lshlrev_b64 v[2:3], 2, v[19:20]
	v_add_co_u32 v11, vcc_lo, v11, v13
	v_add_co_ci_u32_e64 v13, null, v15, v14, vcc_lo
	v_cmp_le_i64_e32 vcc_lo, s[6:7], v[0:1]
	v_add_co_u32 v2, s0, v11, v2
	v_add_co_ci_u32_e64 v3, null, v13, v3, s0
	s_or_b32 s44, vcc_lo, s44
	global_store_dword v[2:3], v12, off
	s_andn2_b32 exec_lo, exec_lo, s44
	s_cbranch_execz .LBB21_19
.LBB21_4:                               ; =>This Loop Header: Depth=1
                                        ;     Child Loop BB21_7 Depth 2
                                        ;       Child Loop BB21_10 Depth 3
                                        ;         Child Loop BB21_13 Depth 4
                                        ;           Child Loop BB21_16 Depth 5
	v_sub_nc_u32_e32 v2, 0, v0
	v_max_i32_e32 v2, v0, v2
	v_mul_hi_u32 v3, v2, v4
	v_mul_lo_u32 v11, v3, s50
	v_sub_nc_u32_e32 v2, v2, v11
	v_add_nc_u32_e32 v11, 1, v3
	v_subrev_nc_u32_e32 v12, s50, v2
	v_cmp_le_u32_e32 vcc_lo, s50, v2
	v_cndmask_b32_e32 v3, v3, v11, vcc_lo
	v_cndmask_b32_e32 v2, v2, v12, vcc_lo
	v_ashrrev_i32_e32 v11, 31, v0
	v_add_nc_u32_e32 v12, 1, v3
	v_cmp_le_u32_e32 vcc_lo, s50, v2
	v_xor_b32_e32 v11, s57, v11
	v_cndmask_b32_e32 v2, v3, v12, vcc_lo
	v_xor_b32_e32 v2, v2, v11
	v_sub_nc_u32_e32 v2, v2, v11
	v_sub_nc_u32_e32 v3, 0, v2
	v_max_i32_e32 v3, v2, v3
	v_mul_hi_u32 v11, v3, v5
	v_mul_lo_u32 v12, v11, s51
	v_sub_nc_u32_e32 v3, v3, v12
	v_add_nc_u32_e32 v12, 1, v11
	v_subrev_nc_u32_e32 v13, s51, v3
	v_cmp_le_u32_e32 vcc_lo, s51, v3
	v_cndmask_b32_e32 v11, v11, v12, vcc_lo
	v_cndmask_b32_e32 v3, v3, v13, vcc_lo
	v_ashrrev_i32_e32 v12, 31, v2
	v_add_nc_u32_e32 v13, 1, v11
	v_cmp_le_u32_e32 vcc_lo, s51, v3
	v_xor_b32_e32 v12, s58, v12
	v_cndmask_b32_e32 v3, v11, v13, vcc_lo
	v_xor_b32_e32 v3, v3, v12
	v_sub_nc_u32_e32 v3, v3, v12
	;; [unrolled: 17-line block ×3, first 2 shown]
	v_sub_nc_u32_e32 v11, 0, v12
	v_max_i32_e32 v11, v12, v11
	v_mul_hi_u32 v13, v11, v7
	v_mul_lo_u32 v14, v13, s33
	v_sub_nc_u32_e32 v11, v11, v14
	v_add_nc_u32_e32 v14, 1, v13
	v_subrev_nc_u32_e32 v15, s33, v11
	v_cmp_le_u32_e32 vcc_lo, s33, v11
	v_cndmask_b32_e32 v13, v13, v14, vcc_lo
	v_cndmask_b32_e32 v11, v11, v15, vcc_lo
	v_ashrrev_i32_e32 v14, 31, v12
	v_add_nc_u32_e32 v15, 1, v13
	v_cmp_le_u32_e32 vcc_lo, s33, v11
	v_xor_b32_e32 v14, s16, v14
	v_cndmask_b32_e32 v11, v13, v15, vcc_lo
	v_mul_lo_u32 v13, v3, s19
	s_andn2_b32 vcc_lo, exec_lo, s49
	v_xor_b32_e32 v11, v11, v14
	v_sub_nc_u32_e32 v13, v2, v13
	v_sub_nc_u32_e32 v15, v11, v14
	v_mul_lo_u32 v11, v2, s34
	v_mul_lo_u32 v14, v12, s18
	;; [unrolled: 1-line block ×3, first 2 shown]
	v_sub_nc_u32_e32 v11, v0, v11
	v_sub_nc_u32_e32 v14, v3, v14
	;; [unrolled: 1-line block ×3, first 2 shown]
	s_cbranch_vccnz .LBB21_18
; %bb.5:                                ;   in Loop: Header=BB21_4 Depth=1
	v_mul_lo_u32 v17, v16, s45
	v_mul_lo_u32 v2, s38, v15
	v_add_nc_u32_e32 v18, s13, v11
	v_add_nc_u32_e32 v19, s12, v13
	;; [unrolled: 1-line block ×3, first 2 shown]
	v_mov_b32_e32 v12, 0
	s_mov_b32 s63, 0
	v_mul_lo_u32 v22, s27, v17
	v_ashrrev_i32_e32 v3, 31, v2
	v_add_nc_u32_e32 v21, s45, v17
	v_lshlrev_b64 v[2:3], 2, v[2:3]
	v_ashrrev_i32_e32 v23, 31, v22
	v_lshlrev_b64 v[24:25], 2, v[22:23]
	v_add_co_u32 v22, vcc_lo, s36, v2
	v_add_co_ci_u32_e64 v23, null, s37, v3, vcc_lo
	v_add_co_u32 v2, vcc_lo, s42, v24
	v_add_co_ci_u32_e64 v3, null, s43, v25, vcc_lo
	s_branch .LBB21_7
.LBB21_6:                               ;   in Loop: Header=BB21_7 Depth=2
	v_add_nc_u32_e32 v17, 1, v17
	v_cmp_ge_i32_e32 vcc_lo, v17, v21
	s_or_b32 s63, vcc_lo, s63
	s_andn2_b32 exec_lo, exec_lo, s63
	s_cbranch_execz .LBB21_2
.LBB21_7:                               ;   Parent Loop BB21_4 Depth=1
                                        ; =>  This Loop Header: Depth=2
                                        ;       Child Loop BB21_10 Depth 3
                                        ;         Child Loop BB21_13 Depth 4
                                        ;           Child Loop BB21_16 Depth 5
	s_andn2_b32 vcc_lo, exec_lo, s46
	s_cbranch_vccnz .LBB21_6
; %bb.8:                                ;   in Loop: Header=BB21_7 Depth=2
	v_mul_lo_u32 v24, s39, v17
	s_mov_b32 s64, 0
	v_ashrrev_i32_e32 v25, 31, v24
	v_lshlrev_b64 v[24:25], 2, v[24:25]
	v_add_co_u32 v24, vcc_lo, v22, v24
	v_add_co_ci_u32_e64 v25, null, v23, v25, vcc_lo
	s_branch .LBB21_10
.LBB21_9:                               ;   in Loop: Header=BB21_10 Depth=3
	s_add_i32 s64, s64, 1
	s_cmp_eq_u32 s64, s24
	s_cbranch_scc1 .LBB21_6
.LBB21_10:                              ;   Parent Loop BB21_4 Depth=1
                                        ;     Parent Loop BB21_7 Depth=2
                                        ; =>    This Loop Header: Depth=3
                                        ;         Child Loop BB21_13 Depth 4
                                        ;           Child Loop BB21_16 Depth 5
	s_andn2_b32 vcc_lo, exec_lo, s47
	s_cbranch_vccnz .LBB21_9
; %bb.11:                               ;   in Loop: Header=BB21_10 Depth=3
	s_mul_i32 s0, s14, s64
	s_mov_b32 s65, 0
	v_subrev_nc_u32_e32 v27, s0, v20
	v_sub_nc_u32_e32 v26, 0, v27
	v_max_i32_e32 v26, v27, v26
	v_mul_hi_u32 v28, v26, v8
	v_mul_lo_u32 v29, v28, s53
	v_sub_nc_u32_e32 v26, v26, v29
	v_add_nc_u32_e32 v29, 1, v28
	v_subrev_nc_u32_e32 v30, s53, v26
	v_cmp_le_u32_e32 vcc_lo, s53, v26
	v_cndmask_b32_e32 v28, v28, v29, vcc_lo
	v_cndmask_b32_e32 v26, v26, v30, vcc_lo
	v_ashrrev_i32_e32 v29, 31, v27
	v_add_nc_u32_e32 v30, 1, v28
	v_cmp_le_u32_e32 vcc_lo, s53, v26
	v_xor_b32_e32 v29, s60, v29
	v_cndmask_b32_e32 v26, v28, v30, vcc_lo
	v_xor_b32_e32 v26, v26, v29
	v_sub_nc_u32_e32 v28, v26, v29
	v_mul_lo_u32 v29, v28, s8
	v_mul_lo_u32 v26, v28, s22
	v_cmp_lt_i32_e64 s0, -1, v28
	v_cmp_gt_i32_e64 s1, s21, v28
	v_cmp_eq_u32_e64 s2, v29, v27
	s_branch .LBB21_13
.LBB21_12:                              ;   in Loop: Header=BB21_13 Depth=4
	s_add_i32 s65, s65, 1
	s_cmp_eq_u32 s65, s25
	s_cbranch_scc1 .LBB21_9
.LBB21_13:                              ;   Parent Loop BB21_4 Depth=1
                                        ;     Parent Loop BB21_7 Depth=2
                                        ;       Parent Loop BB21_10 Depth=3
                                        ; =>      This Loop Header: Depth=4
                                        ;           Child Loop BB21_16 Depth 5
	s_andn2_b32 vcc_lo, exec_lo, s48
	s_cbranch_vccnz .LBB21_12
; %bb.14:                               ;   in Loop: Header=BB21_13 Depth=4
	s_mul_i32 s3, s15, s65
	s_mov_b32 s67, s26
	v_subrev_nc_u32_e32 v28, s3, v19
	v_sub_nc_u32_e32 v27, 0, v28
	v_max_i32_e32 v27, v28, v27
	v_mul_hi_u32 v29, v27, v9
	v_mul_lo_u32 v30, v29, s54
	v_sub_nc_u32_e32 v27, v27, v30
	v_add_nc_u32_e32 v30, 1, v29
	v_subrev_nc_u32_e32 v31, s54, v27
	v_cmp_le_u32_e32 vcc_lo, s54, v27
	v_cndmask_b32_e32 v29, v29, v30, vcc_lo
	v_cndmask_b32_e32 v27, v27, v31, vcc_lo
	v_ashrrev_i32_e32 v30, 31, v28
	v_add_nc_u32_e32 v31, 1, v29
	v_cmp_le_u32_e32 vcc_lo, s54, v27
	v_xor_b32_e32 v30, s61, v30
	v_cndmask_b32_e32 v27, v29, v31, vcc_lo
	v_xor_b32_e32 v27, v27, v30
	v_sub_nc_u32_e32 v29, v27, v30
	v_mul_lo_u32 v30, v29, s9
	v_add_nc_u32_e32 v27, v29, v26
	v_cmp_gt_i32_e64 s3, s22, v29
	v_cmp_lt_i32_e32 vcc_lo, -1, v29
	v_mul_lo_u32 v27, v27, s23
	v_cmp_eq_u32_e64 s4, v30, v28
	v_mov_b32_e32 v28, v18
	s_and_b32 s66, s2, s4
	s_branch .LBB21_16
.LBB21_15:                              ;   in Loop: Header=BB21_16 Depth=5
	s_or_b32 exec_lo, exec_lo, s5
	v_mul_lo_u32 v30, v30, s10
	s_waitcnt vmcnt(0)
	v_fma_f32 v29, v29, v31, v12
	v_add_co_u32 v2, s5, v2, 4
	v_add_co_ci_u32_e64 v3, null, 0, v3, s5
	s_add_i32 s67, s67, -1
	v_cmp_eq_u32_e64 s4, v28, v30
	v_subrev_nc_u32_e32 v28, s20, v28
	s_and_b32 s4, s66, s4
	s_cmp_eq_u32 s67, 0
	v_cndmask_b32_e64 v12, v12, v29, s4
	s_cbranch_scc1 .LBB21_12
.LBB21_16:                              ;   Parent Loop BB21_4 Depth=1
                                        ;     Parent Loop BB21_7 Depth=2
                                        ;       Parent Loop BB21_10 Depth=3
                                        ;         Parent Loop BB21_13 Depth=4
                                        ; =>        This Inner Loop Header: Depth=5
	global_load_dword v29, v[2:3], off
	v_sub_nc_u32_e32 v30, 0, v28
	v_max_i32_e32 v30, v28, v30
	v_mul_hi_u32 v31, v30, v10
	v_mul_lo_u32 v32, v31, s55
	v_sub_nc_u32_e32 v30, v30, v32
	v_add_nc_u32_e32 v32, 1, v31
	v_subrev_nc_u32_e32 v33, s55, v30
	v_cmp_le_u32_e64 s4, s55, v30
	v_cndmask_b32_e64 v31, v31, v32, s4
	v_cndmask_b32_e64 v30, v30, v33, s4
	v_ashrrev_i32_e32 v32, 31, v28
	v_add_nc_u32_e32 v33, 1, v31
	v_cmp_le_u32_e64 s4, s55, v30
	v_xor_b32_e32 v32, s62, v32
	v_cndmask_b32_e64 v30, v31, v33, s4
	v_mov_b32_e32 v31, 0
	v_xor_b32_e32 v30, v30, v32
	v_sub_nc_u32_e32 v30, v30, v32
	v_cmp_lt_i32_e64 s4, -1, v30
	v_cmp_gt_i32_e64 s5, s23, v30
	s_and_b32 s4, s4, vcc_lo
	s_and_b32 s4, s4, s0
	s_and_b32 s4, s5, s4
	;; [unrolled: 1-line block ×4, first 2 shown]
	s_and_saveexec_b32 s5, s4
	s_cbranch_execz .LBB21_15
; %bb.17:                               ;   in Loop: Header=BB21_16 Depth=5
	v_add_nc_u32_e32 v31, v30, v27
	v_ashrrev_i32_e32 v32, 31, v31
	v_lshlrev_b64 v[31:32], 2, v[31:32]
	v_add_co_u32 v31, s4, v24, v31
	v_add_co_ci_u32_e64 v32, null, v25, v32, s4
	global_load_dword v31, v[31:32], off
	s_branch .LBB21_15
.LBB21_18:                              ;   in Loop: Header=BB21_4 Depth=1
	v_mov_b32_e32 v12, 0
	s_branch .LBB21_3
.LBB21_19:
	s_endpgm
	.section	.rodata,"a",@progbits
	.p2align	6, 0x0
	.amdhsa_kernel _ZN2at6native12_GLOBAL__N_143conv_depthwise3d_cuda_backward_input_kernelIffLin1ELin1ELin1ELin1ELin1ELin1ELin1ELin1ELin1EEEvN5torch10headeronly6detail27GenericPackedTensorAccessorINS5_14TensorAccessorIN3c108ArrayRefIlEEKT_Lm4ENS4_16DefaultPtrTraitsEiEENS_6detail16IndexBoundsCheckILm5EiEESC_Lm5ESD_iEENS6_INS7_ISA_SB_Lm4ESD_iEESH_SB_Lm5ESD_iEESI_iiiiiiiii
		.amdhsa_group_segment_fixed_size 0
		.amdhsa_private_segment_fixed_size 0
		.amdhsa_kernarg_size 440
		.amdhsa_user_sgpr_count 6
		.amdhsa_user_sgpr_private_segment_buffer 1
		.amdhsa_user_sgpr_dispatch_ptr 0
		.amdhsa_user_sgpr_queue_ptr 0
		.amdhsa_user_sgpr_kernarg_segment_ptr 1
		.amdhsa_user_sgpr_dispatch_id 0
		.amdhsa_user_sgpr_flat_scratch_init 0
		.amdhsa_user_sgpr_private_segment_size 0
		.amdhsa_wavefront_size32 1
		.amdhsa_uses_dynamic_stack 0
		.amdhsa_system_sgpr_private_segment_wavefront_offset 0
		.amdhsa_system_sgpr_workgroup_id_x 1
		.amdhsa_system_sgpr_workgroup_id_y 0
		.amdhsa_system_sgpr_workgroup_id_z 0
		.amdhsa_system_sgpr_workgroup_info 0
		.amdhsa_system_vgpr_workitem_id 0
		.amdhsa_next_free_vgpr 34
		.amdhsa_next_free_sgpr 68
		.amdhsa_reserve_vcc 1
		.amdhsa_reserve_flat_scratch 0
		.amdhsa_float_round_mode_32 0
		.amdhsa_float_round_mode_16_64 0
		.amdhsa_float_denorm_mode_32 3
		.amdhsa_float_denorm_mode_16_64 3
		.amdhsa_dx10_clamp 1
		.amdhsa_ieee_mode 1
		.amdhsa_fp16_overflow 0
		.amdhsa_workgroup_processor_mode 1
		.amdhsa_memory_ordered 1
		.amdhsa_forward_progress 1
		.amdhsa_shared_vgpr_count 0
		.amdhsa_exception_fp_ieee_invalid_op 0
		.amdhsa_exception_fp_denorm_src 0
		.amdhsa_exception_fp_ieee_div_zero 0
		.amdhsa_exception_fp_ieee_overflow 0
		.amdhsa_exception_fp_ieee_underflow 0
		.amdhsa_exception_fp_ieee_inexact 0
		.amdhsa_exception_int_div_zero 0
	.end_amdhsa_kernel
	.section	.text._ZN2at6native12_GLOBAL__N_143conv_depthwise3d_cuda_backward_input_kernelIffLin1ELin1ELin1ELin1ELin1ELin1ELin1ELin1ELin1EEEvN5torch10headeronly6detail27GenericPackedTensorAccessorINS5_14TensorAccessorIN3c108ArrayRefIlEEKT_Lm4ENS4_16DefaultPtrTraitsEiEENS_6detail16IndexBoundsCheckILm5EiEESC_Lm5ESD_iEENS6_INS7_ISA_SB_Lm4ESD_iEESH_SB_Lm5ESD_iEESI_iiiiiiiii,"axG",@progbits,_ZN2at6native12_GLOBAL__N_143conv_depthwise3d_cuda_backward_input_kernelIffLin1ELin1ELin1ELin1ELin1ELin1ELin1ELin1ELin1EEEvN5torch10headeronly6detail27GenericPackedTensorAccessorINS5_14TensorAccessorIN3c108ArrayRefIlEEKT_Lm4ENS4_16DefaultPtrTraitsEiEENS_6detail16IndexBoundsCheckILm5EiEESC_Lm5ESD_iEENS6_INS7_ISA_SB_Lm4ESD_iEESH_SB_Lm5ESD_iEESI_iiiiiiiii,comdat
.Lfunc_end21:
	.size	_ZN2at6native12_GLOBAL__N_143conv_depthwise3d_cuda_backward_input_kernelIffLin1ELin1ELin1ELin1ELin1ELin1ELin1ELin1ELin1EEEvN5torch10headeronly6detail27GenericPackedTensorAccessorINS5_14TensorAccessorIN3c108ArrayRefIlEEKT_Lm4ENS4_16DefaultPtrTraitsEiEENS_6detail16IndexBoundsCheckILm5EiEESC_Lm5ESD_iEENS6_INS7_ISA_SB_Lm4ESD_iEESH_SB_Lm5ESD_iEESI_iiiiiiiii, .Lfunc_end21-_ZN2at6native12_GLOBAL__N_143conv_depthwise3d_cuda_backward_input_kernelIffLin1ELin1ELin1ELin1ELin1ELin1ELin1ELin1ELin1EEEvN5torch10headeronly6detail27GenericPackedTensorAccessorINS5_14TensorAccessorIN3c108ArrayRefIlEEKT_Lm4ENS4_16DefaultPtrTraitsEiEENS_6detail16IndexBoundsCheckILm5EiEESC_Lm5ESD_iEENS6_INS7_ISA_SB_Lm4ESD_iEESH_SB_Lm5ESD_iEESI_iiiiiiiii
                                        ; -- End function
	.set _ZN2at6native12_GLOBAL__N_143conv_depthwise3d_cuda_backward_input_kernelIffLin1ELin1ELin1ELin1ELin1ELin1ELin1ELin1ELin1EEEvN5torch10headeronly6detail27GenericPackedTensorAccessorINS5_14TensorAccessorIN3c108ArrayRefIlEEKT_Lm4ENS4_16DefaultPtrTraitsEiEENS_6detail16IndexBoundsCheckILm5EiEESC_Lm5ESD_iEENS6_INS7_ISA_SB_Lm4ESD_iEESH_SB_Lm5ESD_iEESI_iiiiiiiii.num_vgpr, 34
	.set _ZN2at6native12_GLOBAL__N_143conv_depthwise3d_cuda_backward_input_kernelIffLin1ELin1ELin1ELin1ELin1ELin1ELin1ELin1ELin1EEEvN5torch10headeronly6detail27GenericPackedTensorAccessorINS5_14TensorAccessorIN3c108ArrayRefIlEEKT_Lm4ENS4_16DefaultPtrTraitsEiEENS_6detail16IndexBoundsCheckILm5EiEESC_Lm5ESD_iEENS6_INS7_ISA_SB_Lm4ESD_iEESH_SB_Lm5ESD_iEESI_iiiiiiiii.num_agpr, 0
	.set _ZN2at6native12_GLOBAL__N_143conv_depthwise3d_cuda_backward_input_kernelIffLin1ELin1ELin1ELin1ELin1ELin1ELin1ELin1ELin1EEEvN5torch10headeronly6detail27GenericPackedTensorAccessorINS5_14TensorAccessorIN3c108ArrayRefIlEEKT_Lm4ENS4_16DefaultPtrTraitsEiEENS_6detail16IndexBoundsCheckILm5EiEESC_Lm5ESD_iEENS6_INS7_ISA_SB_Lm4ESD_iEESH_SB_Lm5ESD_iEESI_iiiiiiiii.numbered_sgpr, 68
	.set _ZN2at6native12_GLOBAL__N_143conv_depthwise3d_cuda_backward_input_kernelIffLin1ELin1ELin1ELin1ELin1ELin1ELin1ELin1ELin1EEEvN5torch10headeronly6detail27GenericPackedTensorAccessorINS5_14TensorAccessorIN3c108ArrayRefIlEEKT_Lm4ENS4_16DefaultPtrTraitsEiEENS_6detail16IndexBoundsCheckILm5EiEESC_Lm5ESD_iEENS6_INS7_ISA_SB_Lm4ESD_iEESH_SB_Lm5ESD_iEESI_iiiiiiiii.num_named_barrier, 0
	.set _ZN2at6native12_GLOBAL__N_143conv_depthwise3d_cuda_backward_input_kernelIffLin1ELin1ELin1ELin1ELin1ELin1ELin1ELin1ELin1EEEvN5torch10headeronly6detail27GenericPackedTensorAccessorINS5_14TensorAccessorIN3c108ArrayRefIlEEKT_Lm4ENS4_16DefaultPtrTraitsEiEENS_6detail16IndexBoundsCheckILm5EiEESC_Lm5ESD_iEENS6_INS7_ISA_SB_Lm4ESD_iEESH_SB_Lm5ESD_iEESI_iiiiiiiii.private_seg_size, 0
	.set _ZN2at6native12_GLOBAL__N_143conv_depthwise3d_cuda_backward_input_kernelIffLin1ELin1ELin1ELin1ELin1ELin1ELin1ELin1ELin1EEEvN5torch10headeronly6detail27GenericPackedTensorAccessorINS5_14TensorAccessorIN3c108ArrayRefIlEEKT_Lm4ENS4_16DefaultPtrTraitsEiEENS_6detail16IndexBoundsCheckILm5EiEESC_Lm5ESD_iEENS6_INS7_ISA_SB_Lm4ESD_iEESH_SB_Lm5ESD_iEESI_iiiiiiiii.uses_vcc, 1
	.set _ZN2at6native12_GLOBAL__N_143conv_depthwise3d_cuda_backward_input_kernelIffLin1ELin1ELin1ELin1ELin1ELin1ELin1ELin1ELin1EEEvN5torch10headeronly6detail27GenericPackedTensorAccessorINS5_14TensorAccessorIN3c108ArrayRefIlEEKT_Lm4ENS4_16DefaultPtrTraitsEiEENS_6detail16IndexBoundsCheckILm5EiEESC_Lm5ESD_iEENS6_INS7_ISA_SB_Lm4ESD_iEESH_SB_Lm5ESD_iEESI_iiiiiiiii.uses_flat_scratch, 0
	.set _ZN2at6native12_GLOBAL__N_143conv_depthwise3d_cuda_backward_input_kernelIffLin1ELin1ELin1ELin1ELin1ELin1ELin1ELin1ELin1EEEvN5torch10headeronly6detail27GenericPackedTensorAccessorINS5_14TensorAccessorIN3c108ArrayRefIlEEKT_Lm4ENS4_16DefaultPtrTraitsEiEENS_6detail16IndexBoundsCheckILm5EiEESC_Lm5ESD_iEENS6_INS7_ISA_SB_Lm4ESD_iEESH_SB_Lm5ESD_iEESI_iiiiiiiii.has_dyn_sized_stack, 0
	.set _ZN2at6native12_GLOBAL__N_143conv_depthwise3d_cuda_backward_input_kernelIffLin1ELin1ELin1ELin1ELin1ELin1ELin1ELin1ELin1EEEvN5torch10headeronly6detail27GenericPackedTensorAccessorINS5_14TensorAccessorIN3c108ArrayRefIlEEKT_Lm4ENS4_16DefaultPtrTraitsEiEENS_6detail16IndexBoundsCheckILm5EiEESC_Lm5ESD_iEENS6_INS7_ISA_SB_Lm4ESD_iEESH_SB_Lm5ESD_iEESI_iiiiiiiii.has_recursion, 0
	.set _ZN2at6native12_GLOBAL__N_143conv_depthwise3d_cuda_backward_input_kernelIffLin1ELin1ELin1ELin1ELin1ELin1ELin1ELin1ELin1EEEvN5torch10headeronly6detail27GenericPackedTensorAccessorINS5_14TensorAccessorIN3c108ArrayRefIlEEKT_Lm4ENS4_16DefaultPtrTraitsEiEENS_6detail16IndexBoundsCheckILm5EiEESC_Lm5ESD_iEENS6_INS7_ISA_SB_Lm4ESD_iEESH_SB_Lm5ESD_iEESI_iiiiiiiii.has_indirect_call, 0
	.section	.AMDGPU.csdata,"",@progbits
; Kernel info:
; codeLenInByte = 2044
; TotalNumSgprs: 70
; NumVgprs: 34
; ScratchSize: 0
; MemoryBound: 0
; FloatMode: 240
; IeeeMode: 1
; LDSByteSize: 0 bytes/workgroup (compile time only)
; SGPRBlocks: 0
; VGPRBlocks: 4
; NumSGPRsForWavesPerEU: 70
; NumVGPRsForWavesPerEU: 34
; Occupancy: 16
; WaveLimiterHint : 0
; COMPUTE_PGM_RSRC2:SCRATCH_EN: 0
; COMPUTE_PGM_RSRC2:USER_SGPR: 6
; COMPUTE_PGM_RSRC2:TRAP_HANDLER: 0
; COMPUTE_PGM_RSRC2:TGID_X_EN: 1
; COMPUTE_PGM_RSRC2:TGID_Y_EN: 0
; COMPUTE_PGM_RSRC2:TGID_Z_EN: 0
; COMPUTE_PGM_RSRC2:TIDIG_COMP_CNT: 0
	.section	.text._ZN2at6native12_GLOBAL__N_143conv_depthwise3d_cuda_backward_input_kernelIN3c104HalfEfLi3ELi3ELi3ELi1ELi1ELi1ELi1ELi1ELi1EEEvN5torch10headeronly6detail27GenericPackedTensorAccessorINS7_14TensorAccessorINS3_8ArrayRefIlEEKT_Lm4ENS6_16DefaultPtrTraitsEiEENS_6detail16IndexBoundsCheckILm5EiEESD_Lm5ESE_iEENS8_INS9_ISB_SC_Lm4ESE_iEESI_SC_Lm5ESE_iEESJ_iiiiiiiii,"axG",@progbits,_ZN2at6native12_GLOBAL__N_143conv_depthwise3d_cuda_backward_input_kernelIN3c104HalfEfLi3ELi3ELi3ELi1ELi1ELi1ELi1ELi1ELi1EEEvN5torch10headeronly6detail27GenericPackedTensorAccessorINS7_14TensorAccessorINS3_8ArrayRefIlEEKT_Lm4ENS6_16DefaultPtrTraitsEiEENS_6detail16IndexBoundsCheckILm5EiEESD_Lm5ESE_iEENS8_INS9_ISB_SC_Lm4ESE_iEESI_SC_Lm5ESE_iEESJ_iiiiiiiii,comdat
	.globl	_ZN2at6native12_GLOBAL__N_143conv_depthwise3d_cuda_backward_input_kernelIN3c104HalfEfLi3ELi3ELi3ELi1ELi1ELi1ELi1ELi1ELi1EEEvN5torch10headeronly6detail27GenericPackedTensorAccessorINS7_14TensorAccessorINS3_8ArrayRefIlEEKT_Lm4ENS6_16DefaultPtrTraitsEiEENS_6detail16IndexBoundsCheckILm5EiEESD_Lm5ESE_iEENS8_INS9_ISB_SC_Lm4ESE_iEESI_SC_Lm5ESE_iEESJ_iiiiiiiii ; -- Begin function _ZN2at6native12_GLOBAL__N_143conv_depthwise3d_cuda_backward_input_kernelIN3c104HalfEfLi3ELi3ELi3ELi1ELi1ELi1ELi1ELi1ELi1EEEvN5torch10headeronly6detail27GenericPackedTensorAccessorINS7_14TensorAccessorINS3_8ArrayRefIlEEKT_Lm4ENS6_16DefaultPtrTraitsEiEENS_6detail16IndexBoundsCheckILm5EiEESD_Lm5ESE_iEENS8_INS9_ISB_SC_Lm4ESE_iEESI_SC_Lm5ESE_iEESJ_iiiiiiiii
	.p2align	8
	.type	_ZN2at6native12_GLOBAL__N_143conv_depthwise3d_cuda_backward_input_kernelIN3c104HalfEfLi3ELi3ELi3ELi1ELi1ELi1ELi1ELi1ELi1EEEvN5torch10headeronly6detail27GenericPackedTensorAccessorINS7_14TensorAccessorINS3_8ArrayRefIlEEKT_Lm4ENS6_16DefaultPtrTraitsEiEENS_6detail16IndexBoundsCheckILm5EiEESD_Lm5ESE_iEENS8_INS9_ISB_SC_Lm4ESE_iEESI_SC_Lm5ESE_iEESJ_iiiiiiiii,@function
_ZN2at6native12_GLOBAL__N_143conv_depthwise3d_cuda_backward_input_kernelIN3c104HalfEfLi3ELi3ELi3ELi1ELi1ELi1ELi1ELi1ELi1EEEvN5torch10headeronly6detail27GenericPackedTensorAccessorINS7_14TensorAccessorINS3_8ArrayRefIlEEKT_Lm4ENS6_16DefaultPtrTraitsEiEENS_6detail16IndexBoundsCheckILm5EiEESD_Lm5ESE_iEENS8_INS9_ISB_SC_Lm4ESE_iEESI_SC_Lm5ESE_iEESJ_iiiiiiiii: ; @_ZN2at6native12_GLOBAL__N_143conv_depthwise3d_cuda_backward_input_kernelIN3c104HalfEfLi3ELi3ELi3ELi1ELi1ELi1ELi1ELi1ELi1EEEvN5torch10headeronly6detail27GenericPackedTensorAccessorINS7_14TensorAccessorINS3_8ArrayRefIlEEKT_Lm4ENS6_16DefaultPtrTraitsEiEENS_6detail16IndexBoundsCheckILm5EiEESD_Lm5ESE_iEENS8_INS9_ISB_SC_Lm4ESE_iEESI_SC_Lm5ESE_iEESJ_iiiiiiiii
; %bb.0:
	s_mov_b64 s[74:75], s[2:3]
	s_mov_b64 s[72:73], s[0:1]
	s_clause 0x2
	s_load_dwordx4 s[8:11], s[4:5], 0x38
	s_load_dword s2, s[4:5], 0xc4
	s_load_dwordx2 s[24:25], s[4:5], 0x48
	s_add_u32 s72, s72, s7
	s_addc_u32 s73, s73, 0
	s_waitcnt lgkmcnt(0)
	s_abs_i32 s33, s9
	s_add_u32 s0, s4, 0xb8
	v_cvt_f32_u32_e32 v1, s33
	s_addc_u32 s1, s5, 0
	s_and_b32 s2, s2, 0xffff
	v_rcp_iflag_f32_e32 v2, v1
	v_mov_b32_e32 v1, 0
	v_mad_u64_u32 v[0:1], null, s2, s6, v[0:1]
	s_mul_i32 s6, s25, s8
	s_mov_b32 s8, exec_lo
	v_mul_f32_e32 v2, 0x4f7ffffe, v2
	s_ashr_i32 s7, s6, 31
	v_cvt_u32_f32_e32 v2, v2
	v_readfirstlane_b32 s3, v2
	v_cmpx_gt_i64_e64 s[6:7], v[0:1]
	s_cbranch_execz .LBB22_62
; %bb.1:
	s_clause 0x1
	s_load_dwordx4 s[12:15], s[4:5], 0xc
	s_load_dwordx2 s[26:27], s[4:5], 0x0
	s_sub_i32 s20, 0, s33
	s_mul_i32 s8, s20, s3
	v_mul_lo_u32 v6, s20, v2
	s_mul_hi_u32 s8, s3, s8
	s_add_i32 s3, s3, s8
	s_ashr_i32 s8, s9, 31
	v_mul_hi_u32 v6, v2, v6
	s_waitcnt lgkmcnt(0)
	s_abs_i32 s16, s12
	s_ashr_i32 s12, s12, 31
	s_mul_hi_u32 s3, s16, s3
	s_xor_b32 s12, s12, s8
	s_mul_i32 s17, s3, s33
	v_add_nc_u32_e32 v2, v2, v6
	s_sub_i32 s16, s16, s17
	s_add_i32 s17, s3, 1
	s_sub_i32 s18, s16, s33
	s_cmp_ge_u32 s16, s33
	s_cselect_b32 s3, s17, s3
	s_cselect_b32 s16, s18, s16
	s_add_i32 s17, s3, 1
	s_cmp_ge_u32 s16, s33
	s_cselect_b32 s3, s17, s3
	s_load_dword s0, s[0:1], 0x0
	s_load_dwordx4 s[16:19], s[4:5], 0x9c
	s_xor_b32 s3, s3, s12
	s_waitcnt lgkmcnt(0)
	s_clause 0x2
	s_load_dword s19, s[4:5], 0x7c
	s_load_dwordx2 s[28:29], s[4:5], 0x1c
	s_load_dwordx2 s[30:31], s[4:5], 0x30
	s_sub_i32 s12, s3, s12
	s_cmp_gt_i32 s12, 0
	s_cselect_b32 s36, -1, 0
	s_abs_i32 s37, s24
	s_abs_i32 s38, s11
	s_abs_i32 s39, s10
	v_cvt_f32_u32_e32 v3, s37
	v_cvt_f32_u32_e32 v4, s38
	;; [unrolled: 1-line block ×3, first 2 shown]
	s_sub_i32 s1, 0, s37
	s_sub_i32 s3, 0, s38
	v_rcp_iflag_f32_e32 v3, v3
	v_rcp_iflag_f32_e32 v4, v4
	;; [unrolled: 1-line block ×3, first 2 shown]
	s_sub_i32 s20, 0, s39
	s_mul_i32 s40, s0, s2
	s_ashr_i32 s41, s24, 31
	s_ashr_i32 s42, s11, 31
	;; [unrolled: 1-line block ×3, first 2 shown]
	s_waitcnt lgkmcnt(0)
	s_mul_i32 s44, s29, s12
	v_mul_f32_e32 v3, 0x4f7ffffe, v3
	v_mul_f32_e32 v4, 0x4f7ffffe, v4
	;; [unrolled: 1-line block ×3, first 2 shown]
	v_cvt_u32_f32_e32 v3, v3
	v_cvt_u32_f32_e32 v4, v4
	;; [unrolled: 1-line block ×3, first 2 shown]
	v_mul_lo_u32 v7, s1, v3
	v_mul_lo_u32 v8, s3, v4
	;; [unrolled: 1-line block ×3, first 2 shown]
	s_clause 0x1
	s_load_dwordx2 s[34:35], s[4:5], 0x60
	s_load_dwordx4 s[20:23], s[4:5], 0x50
	buffer_store_dword v2, off, s[72:75], 0 ; 4-byte Folded Spill
	s_mov_b32 s5, 0
	v_mul_hi_u32 v7, v3, v7
	v_mul_hi_u32 v8, v4, v8
	;; [unrolled: 1-line block ×3, first 2 shown]
	v_add_nc_u32_e32 v2, v3, v7
	v_add_nc_u32_e32 v62, v4, v8
	;; [unrolled: 1-line block ×3, first 2 shown]
	buffer_store_dword v2, off, s[72:75], 0 offset:4 ; 4-byte Folded Spill
	s_branch .LBB22_4
.LBB22_2:                               ;   in Loop: Header=BB22_4 Depth=1
	s_or_b32 exec_lo, exec_lo, s4
	v_cvt_f16_f32_e32 v2, v73
.LBB22_3:                               ;   in Loop: Header=BB22_4 Depth=1
	v_mul_lo_u32 v3, v67, s25
	s_waitcnt lgkmcnt(0)
	v_mul_lo_u32 v5, s20, v68
	v_mul_lo_u32 v7, s21, v66
	;; [unrolled: 1-line block ×3, first 2 shown]
	v_add_co_u32 v0, vcc_lo, v0, s40
	v_add_co_ci_u32_e64 v1, null, 0, v1, vcc_lo
	v_ashrrev_i32_e32 v4, 31, v3
	v_ashrrev_i32_e32 v6, 31, v5
	v_ashrrev_i32_e32 v8, 31, v7
	v_mul_lo_u32 v11, s23, v64
	v_ashrrev_i32_e32 v10, 31, v9
	v_lshlrev_b64 v[3:4], 1, v[3:4]
	v_lshlrev_b64 v[5:6], 1, v[5:6]
	v_ashrrev_i32_e32 v12, 31, v11
	v_add_co_u32 v13, vcc_lo, s30, v3
	v_add_co_ci_u32_e64 v14, null, s31, v4, vcc_lo
	v_lshlrev_b64 v[3:4], 1, v[7:8]
	v_add_co_u32 v7, vcc_lo, v13, v5
	v_add_co_ci_u32_e64 v8, null, v14, v6, vcc_lo
	v_lshlrev_b64 v[5:6], 1, v[9:10]
	;; [unrolled: 3-line block ×3, first 2 shown]
	v_add_co_u32 v5, vcc_lo, v7, v5
	v_add_co_ci_u32_e64 v6, null, v8, v6, vcc_lo
	v_cmp_le_i64_e32 vcc_lo, s[6:7], v[0:1]
	v_add_co_u32 v3, s0, v5, v3
	v_add_co_ci_u32_e64 v4, null, v6, v4, s0
	s_or_b32 s5, vcc_lo, s5
	global_store_short v[3:4], v2, off
	s_andn2_b32 exec_lo, exec_lo, s5
	s_cbranch_execz .LBB22_62
.LBB22_4:                               ; =>This Loop Header: Depth=1
                                        ;     Child Loop BB22_7 Depth 2
	buffer_load_dword v3, off, s[72:75], 0 offset:4 ; 4-byte Folded Reload
	v_sub_nc_u32_e32 v2, 0, v0
	v_max_i32_e32 v2, v0, v2
	s_waitcnt vmcnt(0)
	v_mul_hi_u32 v3, v2, v3
	v_mul_lo_u32 v4, v3, s37
	v_sub_nc_u32_e32 v2, v2, v4
	v_add_nc_u32_e32 v4, 1, v3
	v_subrev_nc_u32_e32 v5, s37, v2
	v_cmp_le_u32_e32 vcc_lo, s37, v2
	v_cndmask_b32_e32 v3, v3, v4, vcc_lo
	v_cndmask_b32_e32 v2, v2, v5, vcc_lo
	v_ashrrev_i32_e32 v4, 31, v0
	v_add_nc_u32_e32 v5, 1, v3
	v_cmp_le_u32_e32 vcc_lo, s37, v2
	v_xor_b32_e32 v4, s41, v4
	v_cndmask_b32_e32 v2, v3, v5, vcc_lo
	v_xor_b32_e32 v2, v2, v4
	v_sub_nc_u32_e32 v2, v2, v4
	v_sub_nc_u32_e32 v3, 0, v2
	v_max_i32_e32 v3, v2, v3
	v_mul_hi_u32 v4, v3, v62
	v_mul_lo_u32 v5, v4, s38
	v_sub_nc_u32_e32 v3, v3, v5
	v_add_nc_u32_e32 v5, 1, v4
	v_subrev_nc_u32_e32 v6, s38, v3
	v_cmp_le_u32_e32 vcc_lo, s38, v3
	v_cndmask_b32_e32 v4, v4, v5, vcc_lo
	v_cndmask_b32_e32 v3, v3, v6, vcc_lo
	v_ashrrev_i32_e32 v5, 31, v2
	v_add_nc_u32_e32 v6, 1, v4
	v_cmp_le_u32_e32 vcc_lo, s38, v3
	v_xor_b32_e32 v5, s42, v5
	v_cndmask_b32_e32 v3, v4, v6, vcc_lo
	v_xor_b32_e32 v3, v3, v5
	v_sub_nc_u32_e32 v3, v3, v5
	v_sub_nc_u32_e32 v4, 0, v3
	v_max_i32_e32 v4, v3, v4
	v_mul_hi_u32 v5, v4, v63
	v_mul_lo_u32 v6, v5, s39
	v_sub_nc_u32_e32 v4, v4, v6
	v_add_nc_u32_e32 v6, 1, v5
	v_subrev_nc_u32_e32 v7, s39, v4
	v_cmp_le_u32_e32 vcc_lo, s39, v4
	v_cndmask_b32_e32 v5, v5, v6, vcc_lo
	v_cndmask_b32_e32 v4, v4, v7, vcc_lo
	v_ashrrev_i32_e32 v6, 31, v3
	v_add_nc_u32_e32 v7, 1, v5
	v_cmp_le_u32_e32 vcc_lo, s39, v4
	v_xor_b32_e32 v6, s43, v6
	v_cndmask_b32_e32 v4, v5, v7, vcc_lo
	v_xor_b32_e32 v4, v4, v6
	v_sub_nc_u32_e32 v4, v4, v6
	buffer_load_dword v6, off, s[72:75], 0  ; 4-byte Folded Reload
	v_sub_nc_u32_e32 v5, 0, v4
	v_max_i32_e32 v5, v4, v5
	s_waitcnt vmcnt(0)
	v_mul_hi_u32 v6, v5, v6
	v_mul_lo_u32 v7, v6, s33
	v_sub_nc_u32_e32 v5, v5, v7
	v_add_nc_u32_e32 v7, 1, v6
	v_subrev_nc_u32_e32 v8, s33, v5
	v_cmp_le_u32_e32 vcc_lo, s33, v5
	v_cndmask_b32_e32 v6, v6, v7, vcc_lo
	v_cndmask_b32_e32 v5, v5, v8, vcc_lo
	v_ashrrev_i32_e32 v7, 31, v4
	v_add_nc_u32_e32 v8, 1, v6
	v_cmp_le_u32_e32 vcc_lo, s33, v5
	v_xor_b32_e32 v7, s8, v7
	v_cndmask_b32_e32 v5, v6, v8, vcc_lo
	v_mul_lo_u32 v6, v3, s11
	s_andn2_b32 vcc_lo, exec_lo, s36
	v_xor_b32_e32 v5, v5, v7
	v_sub_nc_u32_e32 v65, v2, v6
	v_sub_nc_u32_e32 v67, v5, v7
	v_mul_lo_u32 v5, v2, s24
	v_mul_lo_u32 v7, v4, s10
	;; [unrolled: 1-line block ×3, first 2 shown]
	v_sub_nc_u32_e32 v64, v0, v5
	v_sub_nc_u32_e32 v66, v3, v7
	;; [unrolled: 1-line block ×3, first 2 shown]
	s_cbranch_vccnz .LBB22_61
; %bb.5:                                ;   in Loop: Header=BB22_4 Depth=1
	v_mul_lo_u32 v69, v68, s12
	v_mul_lo_u32 v2, s28, v67
	v_add_nc_u32_e32 v19, s16, v66
	v_add_nc_u32_e32 v25, s17, v65
	;; [unrolled: 1-line block ×3, first 2 shown]
	v_mul_lo_u32 v29, v19, s14
	v_mul_lo_u32 v4, s19, v69
	v_ashrrev_i32_e32 v3, 31, v2
	v_or_b32_e32 v6, v20, v25
	v_add_nc_u32_e32 v21, -1, v20
	v_cmp_gt_i32_e64 s0, s14, v25
	v_add_nc_u32_e32 v26, -2, v19
	v_lshlrev_b64 v[2:3], 1, v[2:3]
	v_add_nc_u32_e32 v7, v25, v29
	v_ashrrev_i32_e32 v5, 31, v4
	v_add_nc_u32_e32 v30, -1, v19
	v_cmp_gt_i32_e32 vcc_lo, s13, v19
	v_add_nc_u32_e32 v23, -2, v20
	v_add_co_u32 v70, s1, s26, v2
	v_lshlrev_b64 v[4:5], 1, v[4:5]
	v_add_co_ci_u32_e64 v71, null, s27, v3, s1
	v_mul_lo_u32 v8, v7, s15
	v_or_b32_e32 v7, v21, v25
	v_or_b32_e32 v27, v6, v26
	s_waitcnt lgkmcnt(0)
	v_add_co_u32 v2, s1, s34, v4
	v_or_b32_e32 v4, v6, v19
	v_add_co_ci_u32_e64 v3, null, s35, v5, s1
	v_cmp_gt_i32_e64 s1, s15, v20
	v_or_b32_e32 v31, v6, v30
	v_cmp_lt_i32_e64 s2, -1, v4
	v_or_b32_e32 v6, v7, v19
	v_or_b32_e32 v9, v23, v25
	s_and_b32 s63, s1, s0
	v_add_nc_u32_e32 v24, -1, v25
	s_and_b32 s2, s63, s2
	v_cmp_lt_i32_e64 s3, -1, v6
	s_and_b32 s45, s2, vcc_lo
	v_cmp_gt_i32_e64 s2, s15, v21
	v_or_b32_e32 v10, v9, v19
	v_or_b32_e32 v11, v20, v24
	;; [unrolled: 1-line block ×3, first 2 shown]
	v_add_nc_u32_e32 v12, v24, v29
	s_and_b32 s64, s2, s0
	v_cmp_lt_i32_e64 s4, -1, v10
	s_and_b32 s3, s64, s3
	v_or_b32_e32 v10, v11, v19
	s_and_b32 s46, s3, vcc_lo
	v_cmp_gt_i32_e64 s3, s15, v23
	v_mul_lo_u32 v15, v12, s15
	v_or_b32_e32 v12, v13, v19
	v_or_b32_e32 v14, v23, v24
	v_add_nc_u32_e32 v22, -2, v25
	s_and_b32 s65, s3, s0
	v_cmp_gt_i32_e64 s0, s14, v24
	s_and_b32 s4, s65, s4
	v_or_b32_e32 v16, v14, v19
	s_and_b32 s47, s4, vcc_lo
	v_cmp_lt_i32_e64 s4, -1, v10
	s_and_b32 s66, s1, s0
	s_and_b32 s67, s2, s0
	v_or_b32_e32 v32, v21, v22
	s_and_b32 s68, s3, s0
	s_and_b32 s4, s66, s4
	v_or_b32_e32 v17, v20, v22
	s_and_b32 s48, s4, vcc_lo
	v_cmp_lt_i32_e64 s4, -1, v12
	v_or_b32_e32 v18, v32, v19
	v_or_b32_e32 v34, v23, v22
	;; [unrolled: 1-line block ×4, first 2 shown]
	s_and_b32 s4, s67, s4
	v_or_b32_e32 v36, v11, v30
	s_and_b32 s49, s4, vcc_lo
	v_cmp_lt_i32_e64 s4, -1, v16
	v_add_nc_u32_e32 v16, v22, v29
	v_or_b32_e32 v41, v34, v19
	v_or_b32_e32 v38, v13, v30
	;; [unrolled: 1-line block ×3, first 2 shown]
	s_and_b32 s0, s68, s4
	v_mul_lo_u32 v37, v16, s15
	s_and_b32 s50, s0, vcc_lo
	v_cmp_gt_i32_e64 s0, s14, v22
	v_or_b32_e32 v16, v17, v19
	v_subrev_nc_u32_e32 v44, s14, v29
	v_or_b32_e32 v40, v17, v30
	v_or_b32_e32 v42, v32, v30
	s_and_b32 s70, s1, s0
	v_cmp_lt_i32_e64 s1, -1, v18
	s_and_b32 s69, s2, s0
	v_cmp_lt_i32_e64 s4, -1, v16
	;; [unrolled: 2-line block ×3, first 2 shown]
	s_and_b32 s1, s69, s1
	v_or_b32_e32 v55, v32, v26
	s_and_b32 s52, s1, vcc_lo
	v_cmp_lt_i32_e64 s1, -1, v41
	s_and_b32 s4, s70, s4
	s_and_b32 s0, s63, s0
	s_and_b32 s51, s4, vcc_lo
	v_add_nc_u32_e32 v32, v25, v44
	s_and_b32 s2, s71, s1
	v_cmp_gt_i32_e64 s1, s13, v30
	s_and_b32 s53, s2, vcc_lo
	v_cmp_lt_i32_e32 vcc_lo, -1, v33
	v_subrev_nc_u32_e32 v53, s14, v44
	v_or_b32_e32 v43, v34, v30
	s_and_b32 s54, s0, s1
	v_add_nc_u32_e32 v16, v20, v37
	s_and_b32 s0, s64, vcc_lo
	v_cmp_lt_i32_e32 vcc_lo, -1, v35
	s_and_b32 s55, s0, s1
	v_cmp_lt_i32_e64 s0, -1, v36
	v_add_nc_u32_e32 v18, v21, v37
	v_add_nc_u32_e32 v29, v23, v37
	s_and_b32 s2, s65, vcc_lo
	v_cmp_lt_i32_e32 vcc_lo, -1, v38
	s_and_b32 s0, s66, s0
	s_and_b32 s56, s2, s1
	;; [unrolled: 1-line block ×3, first 2 shown]
	v_mul_lo_u32 v37, v32, s15
	s_and_b32 s0, s67, vcc_lo
	v_cmp_lt_i32_e32 vcc_lo, -1, v39
	s_and_b32 s58, s0, s1
	v_cmp_lt_i32_e64 s0, -1, v40
	v_add_nc_u32_e32 v32, v24, v44
	v_add_nc_u32_e32 v45, v22, v44
	s_and_b32 s2, s68, vcc_lo
	v_cmp_lt_i32_e32 vcc_lo, -1, v42
	v_add_nc_u32_e32 v24, v24, v53
	v_or_b32_e32 v28, v7, v26
	s_and_b32 s59, s2, s1
	s_and_b32 s2, s70, s0
	v_cmp_lt_i32_e64 s0, -1, v43
	v_add_nc_u32_e32 v25, v25, v53
	v_add_nc_u32_e32 v22, v22, v53
	s_and_b32 s60, s2, s1
	s_and_b32 s2, s69, vcc_lo
	v_mul_lo_u32 v41, v32, s15
	v_mul_lo_u32 v46, v45, s15
	;; [unrolled: 1-line block ×3, first 2 shown]
	s_and_b32 s61, s2, s1
	v_cmp_lt_i32_e64 s2, -1, v27
	s_and_b32 s3, s71, s0
	v_cmp_lt_i32_e64 s0, -1, v28
	v_mul_lo_u32 v25, v25, s15
	v_mul_lo_u32 v22, v22, s15
	v_or_b32_e32 v49, v9, v26
	v_or_b32_e32 v51, v13, v26
	v_cmp_gt_i32_e32 vcc_lo, s13, v26
	v_or_b32_e32 v50, v11, v26
	s_and_b32 s62, s3, s1
	s_and_b32 s1, s63, s2
	;; [unrolled: 1-line block ×3, first 2 shown]
	v_add_nc_u32_e32 v31, v20, v37
	v_add_nc_u32_e32 v33, v21, v37
	;; [unrolled: 1-line block ×7, first 2 shown]
	s_and_b32 s63, s1, vcc_lo
	v_cmp_lt_i32_e64 s1, -1, v49
	v_cmp_lt_i32_e64 s0, -1, v51
	s_and_b32 s64, s4, vcc_lo
	v_cmp_lt_i32_e64 s4, -1, v55
	v_add_nc_u32_e32 v55, v20, v24
	v_add_nc_u32_e32 v4, v20, v8
	;; [unrolled: 1-line block ×6, first 2 shown]
	v_or_b32_e32 v52, v14, v26
	v_add_nc_u32_e32 v14, v23, v15
	v_or_b32_e32 v54, v17, v26
	v_or_b32_e32 v58, v34, v26
	v_add_nc_u32_e32 v41, v23, v41
	v_add_nc_u32_e32 v43, v20, v46
	v_cmp_lt_i32_e64 s2, -1, v50
	v_add_nc_u32_e32 v49, v20, v25
	v_add_nc_u32_e32 v51, v21, v25
	;; [unrolled: 1-line block ×8, first 2 shown]
	v_ashrrev_i32_e32 v30, 31, v29
	v_ashrrev_i32_e32 v32, 31, v31
	;; [unrolled: 1-line block ×7, first 2 shown]
	s_and_b32 s1, s65, s1
	s_and_b32 s0, s67, s0
	v_ashrrev_i32_e32 v56, 31, v55
	v_ashrrev_i32_e32 v5, 31, v4
	;; [unrolled: 1-line block ×12, first 2 shown]
	v_cmp_lt_i32_e64 s3, -1, v52
	v_ashrrev_i32_e32 v50, 31, v49
	v_ashrrev_i32_e32 v52, 31, v51
	s_and_b32 s65, s1, vcc_lo
	v_cmp_lt_i32_e64 s1, -1, v54
	s_and_b32 s2, s66, s2
	v_ashrrev_i32_e32 v54, 31, v53
	s_and_b32 s66, s0, vcc_lo
	v_cmp_lt_i32_e64 s0, -1, v58
	v_ashrrev_i32_e32 v58, 31, v57
	v_ashrrev_i32_e32 v60, 31, v59
	;; [unrolled: 1-line block ×5, first 2 shown]
	v_lshlrev_b64 v[20:21], 1, v[29:30]
	v_lshlrev_b64 v[22:23], 1, v[31:32]
	;; [unrolled: 1-line block ×8, first 2 shown]
	v_mul_lo_u32 v56, s44, v68
	v_lshlrev_b64 v[4:5], 1, v[4:5]
	v_lshlrev_b64 v[6:7], 1, v[6:7]
	;; [unrolled: 1-line block ×19, first 2 shown]
	v_add_nc_u32_e32 v72, s12, v69
	v_mov_b32_e32 v73, 0
	s_and_b32 s3, s68, s3
	s_and_b32 s1, s70, s1
	;; [unrolled: 1-line block ×4, first 2 shown]
	s_and_b32 s2, s2, vcc_lo
	s_and_b32 s3, s3, vcc_lo
	;; [unrolled: 1-line block ×5, first 2 shown]
	s_mov_b32 s4, 0
	s_branch .LBB22_7
.LBB22_6:                               ;   in Loop: Header=BB22_7 Depth=2
	s_or_b32 exec_lo, exec_lo, s68
	s_waitcnt vmcnt(26)
	v_fma_mix_f32 v57, v57, v74, v73 op_sel_hi:[0,1,0]
	v_add_nc_u32_e32 v69, 1, v69
	v_add_co_u32 v2, vcc_lo, v2, 54
	v_add_co_ci_u32_e64 v3, null, 0, v3, vcc_lo
	s_waitcnt vmcnt(25)
	v_fma_mix_f32 v57, v79, v77, v57 op_sel_hi:[0,1,0]
	v_cmp_ge_i32_e32 vcc_lo, v69, v72
	v_add_nc_u32_e32 v56, s29, v56
	s_waitcnt vmcnt(24)
	v_fma_mix_f32 v57, v78, v80, v57 op_sel_hi:[0,1,0]
	s_or_b32 s4, vcc_lo, s4
	s_waitcnt vmcnt(23)
	v_fma_mix_f32 v57, v83, v81, v57 op_sel_hi:[0,1,0]
	s_waitcnt vmcnt(22)
	v_fma_mix_f32 v57, v82, v84, v57 op_sel_hi:[0,1,0]
	;; [unrolled: 2-line block ×24, first 2 shown]
	s_andn2_b32 exec_lo, exec_lo, s4
	s_cbranch_execz .LBB22_2
.LBB22_7:                               ;   Parent Loop BB22_4 Depth=1
                                        ; =>  This Inner Loop Header: Depth=2
	global_load_ushort v74, v[2:3], off
	v_ashrrev_i32_e32 v57, 31, v56
	v_lshlrev_b64 v[75:76], 1, v[56:57]
	v_mov_b32_e32 v57, 0
	v_add_co_u32 v75, vcc_lo, v70, v75
	v_add_co_ci_u32_e64 v76, null, v71, v76, vcc_lo
	s_and_saveexec_b32 s68, s45
	s_cbranch_execz .LBB22_9
; %bb.8:                                ;   in Loop: Header=BB22_7 Depth=2
	v_add_co_u32 v77, vcc_lo, v75, v4
	v_add_co_ci_u32_e64 v78, null, v76, v5, vcc_lo
	global_load_ushort v57, v[77:78], off
	s_waitcnt vmcnt(0)
	v_cvt_f32_f16_e32 v57, v57
.LBB22_9:                               ;   in Loop: Header=BB22_7 Depth=2
	s_or_b32 exec_lo, exec_lo, s68
	global_load_ushort v77, v[2:3], off offset:2
	v_mov_b32_e32 v78, 0
	v_mov_b32_e32 v79, 0
	s_and_saveexec_b32 s68, s46
	s_cbranch_execz .LBB22_11
; %bb.10:                               ;   in Loop: Header=BB22_7 Depth=2
	v_add_co_u32 v79, vcc_lo, v75, v6
	v_add_co_ci_u32_e64 v80, null, v76, v7, vcc_lo
	global_load_ushort v60, v[79:80], off
	s_waitcnt vmcnt(0)
	v_cvt_f32_f16_e32 v79, v60
.LBB22_11:                              ;   in Loop: Header=BB22_7 Depth=2
	s_or_b32 exec_lo, exec_lo, s68
	global_load_ushort v80, v[2:3], off offset:4
	s_and_saveexec_b32 s68, s47
	s_cbranch_execz .LBB22_13
; %bb.12:                               ;   in Loop: Header=BB22_7 Depth=2
	v_add_co_u32 v81, vcc_lo, v75, v8
	v_add_co_ci_u32_e64 v82, null, v76, v9, vcc_lo
	global_load_ushort v60, v[81:82], off
	s_waitcnt vmcnt(0)
	v_cvt_f32_f16_e32 v78, v60
.LBB22_13:                              ;   in Loop: Header=BB22_7 Depth=2
	s_or_b32 exec_lo, exec_lo, s68
	global_load_ushort v81, v[2:3], off offset:6
	v_mov_b32_e32 v82, 0
	v_mov_b32_e32 v83, 0
	s_and_saveexec_b32 s68, s48
	s_cbranch_execz .LBB22_15
; %bb.14:                               ;   in Loop: Header=BB22_7 Depth=2
	v_add_co_u32 v83, vcc_lo, v75, v10
	v_add_co_ci_u32_e64 v84, null, v76, v11, vcc_lo
	global_load_ushort v60, v[83:84], off
	s_waitcnt vmcnt(0)
	v_cvt_f32_f16_e32 v83, v60
.LBB22_15:                              ;   in Loop: Header=BB22_7 Depth=2
	s_or_b32 exec_lo, exec_lo, s68
	global_load_ushort v84, v[2:3], off offset:8
	s_and_saveexec_b32 s68, s49
	s_cbranch_execz .LBB22_17
; %bb.16:                               ;   in Loop: Header=BB22_7 Depth=2
	v_add_co_u32 v85, vcc_lo, v75, v12
	v_add_co_ci_u32_e64 v86, null, v76, v13, vcc_lo
	global_load_ushort v60, v[85:86], off
	s_waitcnt vmcnt(0)
	v_cvt_f32_f16_e32 v82, v60
.LBB22_17:                              ;   in Loop: Header=BB22_7 Depth=2
	;; [unrolled: 24-line block ×12, first 2 shown]
	s_or_b32 exec_lo, exec_lo, s68
	global_load_ushort v125, v[2:3], off offset:50
	v_mov_b32_e32 v126, 0
	v_mov_b32_e32 v127, 0
	s_and_saveexec_b32 s68, s0
	s_cbranch_execz .LBB22_59
; %bb.58:                               ;   in Loop: Header=BB22_7 Depth=2
	v_add_co_u32 v60, vcc_lo, v75, v54
	v_add_co_ci_u32_e64 v61, null, v76, v55, vcc_lo
	global_load_ushort v60, v[60:61], off
	s_waitcnt vmcnt(0)
	v_cvt_f32_f16_e32 v127, v60
.LBB22_59:                              ;   in Loop: Header=BB22_7 Depth=2
	s_or_b32 exec_lo, exec_lo, s68
	global_load_ushort v60, v[2:3], off offset:52
	s_and_saveexec_b32 s68, s67
	s_cbranch_execz .LBB22_6
; %bb.60:                               ;   in Loop: Header=BB22_7 Depth=2
	v_add_co_u32 v75, vcc_lo, v75, v58
	v_add_co_ci_u32_e64 v76, null, v76, v59, vcc_lo
	global_load_ushort v61, v[75:76], off
	s_waitcnt vmcnt(0)
	v_cvt_f32_f16_e32 v126, v61
	s_branch .LBB22_6
.LBB22_61:                              ;   in Loop: Header=BB22_4 Depth=1
	v_mov_b32_e32 v2, 0
	s_branch .LBB22_3
.LBB22_62:
	s_endpgm
	.section	.rodata,"a",@progbits
	.p2align	6, 0x0
	.amdhsa_kernel _ZN2at6native12_GLOBAL__N_143conv_depthwise3d_cuda_backward_input_kernelIN3c104HalfEfLi3ELi3ELi3ELi1ELi1ELi1ELi1ELi1ELi1EEEvN5torch10headeronly6detail27GenericPackedTensorAccessorINS7_14TensorAccessorINS3_8ArrayRefIlEEKT_Lm4ENS6_16DefaultPtrTraitsEiEENS_6detail16IndexBoundsCheckILm5EiEESD_Lm5ESE_iEENS8_INS9_ISB_SC_Lm4ESE_iEESI_SC_Lm5ESE_iEESJ_iiiiiiiii
		.amdhsa_group_segment_fixed_size 0
		.amdhsa_private_segment_fixed_size 12
		.amdhsa_kernarg_size 440
		.amdhsa_user_sgpr_count 6
		.amdhsa_user_sgpr_private_segment_buffer 1
		.amdhsa_user_sgpr_dispatch_ptr 0
		.amdhsa_user_sgpr_queue_ptr 0
		.amdhsa_user_sgpr_kernarg_segment_ptr 1
		.amdhsa_user_sgpr_dispatch_id 0
		.amdhsa_user_sgpr_flat_scratch_init 0
		.amdhsa_user_sgpr_private_segment_size 0
		.amdhsa_wavefront_size32 1
		.amdhsa_uses_dynamic_stack 0
		.amdhsa_system_sgpr_private_segment_wavefront_offset 1
		.amdhsa_system_sgpr_workgroup_id_x 1
		.amdhsa_system_sgpr_workgroup_id_y 0
		.amdhsa_system_sgpr_workgroup_id_z 0
		.amdhsa_system_sgpr_workgroup_info 0
		.amdhsa_system_vgpr_workitem_id 0
		.amdhsa_next_free_vgpr 128
		.amdhsa_next_free_sgpr 76
		.amdhsa_reserve_vcc 1
		.amdhsa_reserve_flat_scratch 0
		.amdhsa_float_round_mode_32 0
		.amdhsa_float_round_mode_16_64 0
		.amdhsa_float_denorm_mode_32 3
		.amdhsa_float_denorm_mode_16_64 3
		.amdhsa_dx10_clamp 1
		.amdhsa_ieee_mode 1
		.amdhsa_fp16_overflow 0
		.amdhsa_workgroup_processor_mode 1
		.amdhsa_memory_ordered 1
		.amdhsa_forward_progress 1
		.amdhsa_shared_vgpr_count 0
		.amdhsa_exception_fp_ieee_invalid_op 0
		.amdhsa_exception_fp_denorm_src 0
		.amdhsa_exception_fp_ieee_div_zero 0
		.amdhsa_exception_fp_ieee_overflow 0
		.amdhsa_exception_fp_ieee_underflow 0
		.amdhsa_exception_fp_ieee_inexact 0
		.amdhsa_exception_int_div_zero 0
	.end_amdhsa_kernel
	.section	.text._ZN2at6native12_GLOBAL__N_143conv_depthwise3d_cuda_backward_input_kernelIN3c104HalfEfLi3ELi3ELi3ELi1ELi1ELi1ELi1ELi1ELi1EEEvN5torch10headeronly6detail27GenericPackedTensorAccessorINS7_14TensorAccessorINS3_8ArrayRefIlEEKT_Lm4ENS6_16DefaultPtrTraitsEiEENS_6detail16IndexBoundsCheckILm5EiEESD_Lm5ESE_iEENS8_INS9_ISB_SC_Lm4ESE_iEESI_SC_Lm5ESE_iEESJ_iiiiiiiii,"axG",@progbits,_ZN2at6native12_GLOBAL__N_143conv_depthwise3d_cuda_backward_input_kernelIN3c104HalfEfLi3ELi3ELi3ELi1ELi1ELi1ELi1ELi1ELi1EEEvN5torch10headeronly6detail27GenericPackedTensorAccessorINS7_14TensorAccessorINS3_8ArrayRefIlEEKT_Lm4ENS6_16DefaultPtrTraitsEiEENS_6detail16IndexBoundsCheckILm5EiEESD_Lm5ESE_iEENS8_INS9_ISB_SC_Lm4ESE_iEESI_SC_Lm5ESE_iEESJ_iiiiiiiii,comdat
.Lfunc_end22:
	.size	_ZN2at6native12_GLOBAL__N_143conv_depthwise3d_cuda_backward_input_kernelIN3c104HalfEfLi3ELi3ELi3ELi1ELi1ELi1ELi1ELi1ELi1EEEvN5torch10headeronly6detail27GenericPackedTensorAccessorINS7_14TensorAccessorINS3_8ArrayRefIlEEKT_Lm4ENS6_16DefaultPtrTraitsEiEENS_6detail16IndexBoundsCheckILm5EiEESD_Lm5ESE_iEENS8_INS9_ISB_SC_Lm4ESE_iEESI_SC_Lm5ESE_iEESJ_iiiiiiiii, .Lfunc_end22-_ZN2at6native12_GLOBAL__N_143conv_depthwise3d_cuda_backward_input_kernelIN3c104HalfEfLi3ELi3ELi3ELi1ELi1ELi1ELi1ELi1ELi1EEEvN5torch10headeronly6detail27GenericPackedTensorAccessorINS7_14TensorAccessorINS3_8ArrayRefIlEEKT_Lm4ENS6_16DefaultPtrTraitsEiEENS_6detail16IndexBoundsCheckILm5EiEESD_Lm5ESE_iEENS8_INS9_ISB_SC_Lm4ESE_iEESI_SC_Lm5ESE_iEESJ_iiiiiiiii
                                        ; -- End function
	.set _ZN2at6native12_GLOBAL__N_143conv_depthwise3d_cuda_backward_input_kernelIN3c104HalfEfLi3ELi3ELi3ELi1ELi1ELi1ELi1ELi1ELi1EEEvN5torch10headeronly6detail27GenericPackedTensorAccessorINS7_14TensorAccessorINS3_8ArrayRefIlEEKT_Lm4ENS6_16DefaultPtrTraitsEiEENS_6detail16IndexBoundsCheckILm5EiEESD_Lm5ESE_iEENS8_INS9_ISB_SC_Lm4ESE_iEESI_SC_Lm5ESE_iEESJ_iiiiiiiii.num_vgpr, 128
	.set _ZN2at6native12_GLOBAL__N_143conv_depthwise3d_cuda_backward_input_kernelIN3c104HalfEfLi3ELi3ELi3ELi1ELi1ELi1ELi1ELi1ELi1EEEvN5torch10headeronly6detail27GenericPackedTensorAccessorINS7_14TensorAccessorINS3_8ArrayRefIlEEKT_Lm4ENS6_16DefaultPtrTraitsEiEENS_6detail16IndexBoundsCheckILm5EiEESD_Lm5ESE_iEENS8_INS9_ISB_SC_Lm4ESE_iEESI_SC_Lm5ESE_iEESJ_iiiiiiiii.num_agpr, 0
	.set _ZN2at6native12_GLOBAL__N_143conv_depthwise3d_cuda_backward_input_kernelIN3c104HalfEfLi3ELi3ELi3ELi1ELi1ELi1ELi1ELi1ELi1EEEvN5torch10headeronly6detail27GenericPackedTensorAccessorINS7_14TensorAccessorINS3_8ArrayRefIlEEKT_Lm4ENS6_16DefaultPtrTraitsEiEENS_6detail16IndexBoundsCheckILm5EiEESD_Lm5ESE_iEENS8_INS9_ISB_SC_Lm4ESE_iEESI_SC_Lm5ESE_iEESJ_iiiiiiiii.numbered_sgpr, 76
	.set _ZN2at6native12_GLOBAL__N_143conv_depthwise3d_cuda_backward_input_kernelIN3c104HalfEfLi3ELi3ELi3ELi1ELi1ELi1ELi1ELi1ELi1EEEvN5torch10headeronly6detail27GenericPackedTensorAccessorINS7_14TensorAccessorINS3_8ArrayRefIlEEKT_Lm4ENS6_16DefaultPtrTraitsEiEENS_6detail16IndexBoundsCheckILm5EiEESD_Lm5ESE_iEENS8_INS9_ISB_SC_Lm4ESE_iEESI_SC_Lm5ESE_iEESJ_iiiiiiiii.num_named_barrier, 0
	.set _ZN2at6native12_GLOBAL__N_143conv_depthwise3d_cuda_backward_input_kernelIN3c104HalfEfLi3ELi3ELi3ELi1ELi1ELi1ELi1ELi1ELi1EEEvN5torch10headeronly6detail27GenericPackedTensorAccessorINS7_14TensorAccessorINS3_8ArrayRefIlEEKT_Lm4ENS6_16DefaultPtrTraitsEiEENS_6detail16IndexBoundsCheckILm5EiEESD_Lm5ESE_iEENS8_INS9_ISB_SC_Lm4ESE_iEESI_SC_Lm5ESE_iEESJ_iiiiiiiii.private_seg_size, 12
	.set _ZN2at6native12_GLOBAL__N_143conv_depthwise3d_cuda_backward_input_kernelIN3c104HalfEfLi3ELi3ELi3ELi1ELi1ELi1ELi1ELi1ELi1EEEvN5torch10headeronly6detail27GenericPackedTensorAccessorINS7_14TensorAccessorINS3_8ArrayRefIlEEKT_Lm4ENS6_16DefaultPtrTraitsEiEENS_6detail16IndexBoundsCheckILm5EiEESD_Lm5ESE_iEENS8_INS9_ISB_SC_Lm4ESE_iEESI_SC_Lm5ESE_iEESJ_iiiiiiiii.uses_vcc, 1
	.set _ZN2at6native12_GLOBAL__N_143conv_depthwise3d_cuda_backward_input_kernelIN3c104HalfEfLi3ELi3ELi3ELi1ELi1ELi1ELi1ELi1ELi1EEEvN5torch10headeronly6detail27GenericPackedTensorAccessorINS7_14TensorAccessorINS3_8ArrayRefIlEEKT_Lm4ENS6_16DefaultPtrTraitsEiEENS_6detail16IndexBoundsCheckILm5EiEESD_Lm5ESE_iEENS8_INS9_ISB_SC_Lm4ESE_iEESI_SC_Lm5ESE_iEESJ_iiiiiiiii.uses_flat_scratch, 0
	.set _ZN2at6native12_GLOBAL__N_143conv_depthwise3d_cuda_backward_input_kernelIN3c104HalfEfLi3ELi3ELi3ELi1ELi1ELi1ELi1ELi1ELi1EEEvN5torch10headeronly6detail27GenericPackedTensorAccessorINS7_14TensorAccessorINS3_8ArrayRefIlEEKT_Lm4ENS6_16DefaultPtrTraitsEiEENS_6detail16IndexBoundsCheckILm5EiEESD_Lm5ESE_iEENS8_INS9_ISB_SC_Lm4ESE_iEESI_SC_Lm5ESE_iEESJ_iiiiiiiii.has_dyn_sized_stack, 0
	.set _ZN2at6native12_GLOBAL__N_143conv_depthwise3d_cuda_backward_input_kernelIN3c104HalfEfLi3ELi3ELi3ELi1ELi1ELi1ELi1ELi1ELi1EEEvN5torch10headeronly6detail27GenericPackedTensorAccessorINS7_14TensorAccessorINS3_8ArrayRefIlEEKT_Lm4ENS6_16DefaultPtrTraitsEiEENS_6detail16IndexBoundsCheckILm5EiEESD_Lm5ESE_iEENS8_INS9_ISB_SC_Lm4ESE_iEESI_SC_Lm5ESE_iEESJ_iiiiiiiii.has_recursion, 0
	.set _ZN2at6native12_GLOBAL__N_143conv_depthwise3d_cuda_backward_input_kernelIN3c104HalfEfLi3ELi3ELi3ELi1ELi1ELi1ELi1ELi1ELi1EEEvN5torch10headeronly6detail27GenericPackedTensorAccessorINS7_14TensorAccessorINS3_8ArrayRefIlEEKT_Lm4ENS6_16DefaultPtrTraitsEiEENS_6detail16IndexBoundsCheckILm5EiEESD_Lm5ESE_iEENS8_INS9_ISB_SC_Lm4ESE_iEESI_SC_Lm5ESE_iEESJ_iiiiiiiii.has_indirect_call, 0
	.section	.AMDGPU.csdata,"",@progbits
; Kernel info:
; codeLenInByte = 4420
; TotalNumSgprs: 78
; NumVgprs: 128
; ScratchSize: 12
; MemoryBound: 0
; FloatMode: 240
; IeeeMode: 1
; LDSByteSize: 0 bytes/workgroup (compile time only)
; SGPRBlocks: 0
; VGPRBlocks: 15
; NumSGPRsForWavesPerEU: 78
; NumVGPRsForWavesPerEU: 128
; Occupancy: 8
; WaveLimiterHint : 0
; COMPUTE_PGM_RSRC2:SCRATCH_EN: 1
; COMPUTE_PGM_RSRC2:USER_SGPR: 6
; COMPUTE_PGM_RSRC2:TRAP_HANDLER: 0
; COMPUTE_PGM_RSRC2:TGID_X_EN: 1
; COMPUTE_PGM_RSRC2:TGID_Y_EN: 0
; COMPUTE_PGM_RSRC2:TGID_Z_EN: 0
; COMPUTE_PGM_RSRC2:TIDIG_COMP_CNT: 0
	.section	.text._ZN2at6native12_GLOBAL__N_143conv_depthwise3d_cuda_backward_input_kernelIN3c104HalfEfLi3ELi3ELi3ELi1ELi1ELi1ELin1ELin1ELin1EEEvN5torch10headeronly6detail27GenericPackedTensorAccessorINS7_14TensorAccessorINS3_8ArrayRefIlEEKT_Lm4ENS6_16DefaultPtrTraitsEiEENS_6detail16IndexBoundsCheckILm5EiEESD_Lm5ESE_iEENS8_INS9_ISB_SC_Lm4ESE_iEESI_SC_Lm5ESE_iEESJ_iiiiiiiii,"axG",@progbits,_ZN2at6native12_GLOBAL__N_143conv_depthwise3d_cuda_backward_input_kernelIN3c104HalfEfLi3ELi3ELi3ELi1ELi1ELi1ELin1ELin1ELin1EEEvN5torch10headeronly6detail27GenericPackedTensorAccessorINS7_14TensorAccessorINS3_8ArrayRefIlEEKT_Lm4ENS6_16DefaultPtrTraitsEiEENS_6detail16IndexBoundsCheckILm5EiEESD_Lm5ESE_iEENS8_INS9_ISB_SC_Lm4ESE_iEESI_SC_Lm5ESE_iEESJ_iiiiiiiii,comdat
	.globl	_ZN2at6native12_GLOBAL__N_143conv_depthwise3d_cuda_backward_input_kernelIN3c104HalfEfLi3ELi3ELi3ELi1ELi1ELi1ELin1ELin1ELin1EEEvN5torch10headeronly6detail27GenericPackedTensorAccessorINS7_14TensorAccessorINS3_8ArrayRefIlEEKT_Lm4ENS6_16DefaultPtrTraitsEiEENS_6detail16IndexBoundsCheckILm5EiEESD_Lm5ESE_iEENS8_INS9_ISB_SC_Lm4ESE_iEESI_SC_Lm5ESE_iEESJ_iiiiiiiii ; -- Begin function _ZN2at6native12_GLOBAL__N_143conv_depthwise3d_cuda_backward_input_kernelIN3c104HalfEfLi3ELi3ELi3ELi1ELi1ELi1ELin1ELin1ELin1EEEvN5torch10headeronly6detail27GenericPackedTensorAccessorINS7_14TensorAccessorINS3_8ArrayRefIlEEKT_Lm4ENS6_16DefaultPtrTraitsEiEENS_6detail16IndexBoundsCheckILm5EiEESD_Lm5ESE_iEENS8_INS9_ISB_SC_Lm4ESE_iEESI_SC_Lm5ESE_iEESJ_iiiiiiiii
	.p2align	8
	.type	_ZN2at6native12_GLOBAL__N_143conv_depthwise3d_cuda_backward_input_kernelIN3c104HalfEfLi3ELi3ELi3ELi1ELi1ELi1ELin1ELin1ELin1EEEvN5torch10headeronly6detail27GenericPackedTensorAccessorINS7_14TensorAccessorINS3_8ArrayRefIlEEKT_Lm4ENS6_16DefaultPtrTraitsEiEENS_6detail16IndexBoundsCheckILm5EiEESD_Lm5ESE_iEENS8_INS9_ISB_SC_Lm4ESE_iEESI_SC_Lm5ESE_iEESJ_iiiiiiiii,@function
_ZN2at6native12_GLOBAL__N_143conv_depthwise3d_cuda_backward_input_kernelIN3c104HalfEfLi3ELi3ELi3ELi1ELi1ELi1ELin1ELin1ELin1EEEvN5torch10headeronly6detail27GenericPackedTensorAccessorINS7_14TensorAccessorINS3_8ArrayRefIlEEKT_Lm4ENS6_16DefaultPtrTraitsEiEENS_6detail16IndexBoundsCheckILm5EiEESD_Lm5ESE_iEENS8_INS9_ISB_SC_Lm4ESE_iEESI_SC_Lm5ESE_iEESJ_iiiiiiiii: ; @_ZN2at6native12_GLOBAL__N_143conv_depthwise3d_cuda_backward_input_kernelIN3c104HalfEfLi3ELi3ELi3ELi1ELi1ELi1ELin1ELin1ELin1EEEvN5torch10headeronly6detail27GenericPackedTensorAccessorINS7_14TensorAccessorINS3_8ArrayRefIlEEKT_Lm4ENS6_16DefaultPtrTraitsEiEENS_6detail16IndexBoundsCheckILm5EiEESD_Lm5ESE_iEENS8_INS9_ISB_SC_Lm4ESE_iEESI_SC_Lm5ESE_iEESJ_iiiiiiiii
; %bb.0:
	s_mov_b64 s[102:103], s[2:3]
	s_mov_b64 s[100:101], s[0:1]
	s_clause 0x2
	s_load_dwordx4 s[44:47], s[4:5], 0x38
	s_load_dword s2, s[4:5], 0xc4
	s_load_dwordx2 s[60:61], s[4:5], 0x48
	s_add_u32 s100, s100, s7
	s_addc_u32 s101, s101, 0
                                        ; implicit-def: $vgpr127 : SGPR spill to VGPR lane
	s_waitcnt lgkmcnt(0)
	s_abs_i32 s74, s45
	s_add_u32 s0, s4, 0xb8
	v_cvt_f32_u32_e32 v1, s74
	s_addc_u32 s1, s5, 0
	s_and_b32 s2, s2, 0xffff
	v_rcp_iflag_f32_e32 v2, v1
	v_mov_b32_e32 v1, 0
	v_mad_u64_u32 v[0:1], null, s2, s6, v[0:1]
	s_mul_i32 s6, s61, s44
	v_mul_f32_e32 v2, 0x4f7ffffe, v2
	s_ashr_i32 s7, s6, 31
	v_writelane_b32 v127, s6, 0
	v_cmp_gt_i64_e32 vcc_lo, s[6:7], v[0:1]
	v_cvt_u32_f32_e32 v2, v2
	v_writelane_b32 v127, s7, 1
	v_readfirstlane_b32 s3, v2
	s_and_saveexec_b32 s6, vcc_lo
	s_cbranch_execz .LBB23_62
; %bb.1:
	s_clause 0x2
	s_load_dwordx2 s[8:9], s[4:5], 0xa0
	s_load_dwordx4 s[48:51], s[4:5], 0xc
	s_load_dwordx2 s[66:67], s[4:5], 0x0
	s_sub_i32 s6, 0, s74
	s_load_dword s0, s[0:1], 0x0
	s_mul_i32 s7, s6, s3
	s_clause 0x1
	s_load_dwordx4 s[52:55], s[4:5], 0x90
	s_load_dword s10, s[4:5], 0x7c
	s_mul_hi_u32 s7, s3, s7
	s_ashr_i32 s65, s45, 31
	s_add_i32 s3, s3, s7
	v_mul_lo_u32 v3, s6, v2
	s_clause 0x3
	s_load_dwordx2 s[68:69], s[4:5], 0x1c
	s_load_dwordx2 s[70:71], s[4:5], 0x30
	;; [unrolled: 1-line block ×3, first 2 shown]
	s_load_dwordx4 s[56:59], s[4:5], 0x50
	s_mov_b32 s76, 0
	v_mul_hi_u32 v3, v2, v3
	s_waitcnt lgkmcnt(0)
	v_writelane_b32 v127, s8, 2
	s_abs_i32 s7, s48
	s_mul_hi_u32 s1, s7, s3
	s_ashr_i32 s3, s48, 31
	v_writelane_b32 v127, s9, 3
	s_mul_i32 s8, s1, s74
	s_xor_b32 s3, s3, s65
	s_sub_i32 s7, s7, s8
	s_add_i32 s8, s1, 1
	s_sub_i32 s9, s7, s74
	s_cmp_ge_u32 s7, s74
	v_writelane_b32 v127, s10, 4
	s_cselect_b32 s1, s8, s1
	s_cselect_b32 s7, s9, s7
	s_add_i32 s8, s1, 1
	s_cmp_ge_u32 s7, s74
	s_mul_i32 s0, s0, s2
	s_cselect_b32 s1, s8, s1
	v_writelane_b32 v127, s0, 5
	s_xor_b32 s1, s1, s3
	v_add_nc_u32_e32 v2, v2, v3
	s_sub_i32 s77, s1, s3
	s_cmp_gt_i32 s77, 0
	s_cselect_b32 s0, -1, 0
	s_abs_i32 s80, s60
	s_abs_i32 s81, s47
	v_cvt_f32_u32_e32 v4, s80
	v_cvt_f32_u32_e32 v5, s81
	s_abs_i32 s82, s46
	s_abs_i32 s83, s52
	;; [unrolled: 1-line block ×3, first 2 shown]
	v_rcp_iflag_f32_e32 v4, v4
	s_abs_i32 s85, s54
	v_cvt_f32_u32_e32 v6, s82
	v_cvt_f32_u32_e32 v7, s83
	;; [unrolled: 1-line block ×4, first 2 shown]
	v_rcp_iflag_f32_e32 v5, v5
	v_rcp_iflag_f32_e32 v6, v6
	;; [unrolled: 1-line block ×5, first 2 shown]
	v_mul_f32_e32 v4, 0x4f7ffffe, v4
	v_writelane_b32 v127, s0, 6
	s_sub_i32 s0, 0, s80
	s_sub_i32 s1, 0, s81
	;; [unrolled: 1-line block ×3, first 2 shown]
	v_mul_f32_e32 v5, 0x4f7ffffe, v5
	v_cvt_u32_f32_e32 v4, v4
	v_mul_f32_e32 v6, 0x4f7ffffe, v6
	v_mul_f32_e32 v7, 0x4f7ffffe, v7
	;; [unrolled: 1-line block ×4, first 2 shown]
	v_cvt_u32_f32_e32 v5, v5
	v_mul_lo_u32 v10, s0, v4
	v_cvt_u32_f32_e32 v6, v6
	v_cvt_u32_f32_e32 v7, v7
	;; [unrolled: 1-line block ×3, first 2 shown]
	v_mul_lo_u32 v11, s1, v5
	v_cvt_u32_f32_e32 v9, v9
	s_sub_i32 s3, 0, s83
	s_sub_i32 s4, 0, s84
	;; [unrolled: 1-line block ×3, first 2 shown]
	v_mul_hi_u32 v10, v4, v10
	v_mul_lo_u32 v12, s2, v6
	v_mul_lo_u32 v13, s3, v7
	;; [unrolled: 1-line block ×4, first 2 shown]
	v_mul_hi_u32 v11, v5, v11
	s_ashr_i32 s0, s60, 31
	buffer_store_dword v2, off, s[100:103], 0 offset:12 ; 4-byte Folded Spill
	v_writelane_b32 v127, s0, 7
	v_add_nc_u32_e32 v4, v4, v10
	v_mul_hi_u32 v12, v6, v12
	v_mul_hi_u32 v13, v7, v13
	;; [unrolled: 1-line block ×4, first 2 shown]
	s_ashr_i32 s0, s47, 31
	buffer_store_dword v4, off, s[100:103], 0 ; 4-byte Folded Spill
	v_writelane_b32 v127, s0, 8
	v_add_nc_u32_e32 v4, v5, v11
	s_ashr_i32 s0, s46, 31
	v_add_nc_u32_e32 v2, v7, v13
	v_add_nc_u32_e32 v65, v8, v14
	v_writelane_b32 v127, s0, 9
	buffer_store_dword v4, off, s[100:103], 0 offset:4 ; 4-byte Folded Spill
	v_add_nc_u32_e32 v4, v6, v12
	v_add_nc_u32_e32 v66, v9, v15
	s_ashr_i32 s89, s52, 31
	s_ashr_i32 s90, s53, 31
	;; [unrolled: 1-line block ×3, first 2 shown]
	buffer_store_dword v4, off, s[100:103], 0 offset:8 ; 4-byte Folded Spill
	buffer_store_dword v2, off, s[100:103], 0 offset:16 ; 4-byte Folded Spill
	s_branch .LBB23_4
.LBB23_2:                               ;   in Loop: Header=BB23_4 Depth=1
	s_or_b32 exec_lo, exec_lo, s92
	v_cvt_f16_f32_e32 v2, v76
.LBB23_3:                               ;   in Loop: Header=BB23_4 Depth=1
	v_mul_lo_u32 v3, v70, s61
	v_mul_lo_u32 v5, s56, v71
	;; [unrolled: 1-line block ×3, first 2 shown]
	v_readlane_b32 s0, v127, 5
	v_mul_lo_u32 v9, s58, v68
	v_mul_lo_u32 v11, s59, v67
	v_add_co_u32 v0, vcc_lo, v0, s0
	v_ashrrev_i32_e32 v4, 31, v3
	v_ashrrev_i32_e32 v6, 31, v5
	;; [unrolled: 1-line block ×3, first 2 shown]
	v_add_co_ci_u32_e64 v1, null, 0, v1, vcc_lo
	v_lshlrev_b64 v[3:4], 1, v[3:4]
	v_lshlrev_b64 v[5:6], 1, v[5:6]
	v_ashrrev_i32_e32 v10, 31, v9
	v_ashrrev_i32_e32 v12, 31, v11
	v_readlane_b32 s0, v127, 0
	v_readlane_b32 s1, v127, 1
	v_add_co_u32 v13, vcc_lo, s70, v3
	v_add_co_ci_u32_e64 v14, null, s71, v4, vcc_lo
	v_lshlrev_b64 v[3:4], 1, v[7:8]
	v_add_co_u32 v7, vcc_lo, v13, v5
	v_add_co_ci_u32_e64 v8, null, v14, v6, vcc_lo
	v_lshlrev_b64 v[5:6], 1, v[9:10]
	;; [unrolled: 3-line block ×3, first 2 shown]
	v_add_co_u32 v5, vcc_lo, v7, v5
	v_add_co_ci_u32_e64 v6, null, v8, v6, vcc_lo
	v_cmp_le_i64_e32 vcc_lo, s[0:1], v[0:1]
	v_add_co_u32 v3, s0, v5, v3
	v_add_co_ci_u32_e64 v4, null, v6, v4, s0
	s_or_b32 s76, vcc_lo, s76
	global_store_short v[3:4], v2, off
	s_andn2_b32 exec_lo, exec_lo, s76
	s_cbranch_execz .LBB23_62
.LBB23_4:                               ; =>This Loop Header: Depth=1
                                        ;     Child Loop BB23_7 Depth 2
	buffer_load_dword v3, off, s[100:103], 0 ; 4-byte Folded Reload
	v_sub_nc_u32_e32 v2, 0, v0
	v_readlane_b32 s0, v127, 7
	v_max_i32_e32 v2, v0, v2
	s_waitcnt vmcnt(0)
	v_mul_hi_u32 v3, v2, v3
	v_mul_lo_u32 v4, v3, s80
	v_sub_nc_u32_e32 v2, v2, v4
	v_add_nc_u32_e32 v4, 1, v3
	v_subrev_nc_u32_e32 v5, s80, v2
	v_cmp_le_u32_e32 vcc_lo, s80, v2
	v_cndmask_b32_e32 v3, v3, v4, vcc_lo
	v_cndmask_b32_e32 v2, v2, v5, vcc_lo
	v_ashrrev_i32_e32 v4, 31, v0
	v_add_nc_u32_e32 v5, 1, v3
	v_cmp_le_u32_e32 vcc_lo, s80, v2
	v_xor_b32_e32 v4, s0, v4
	v_readlane_b32 s0, v127, 8
	v_cndmask_b32_e32 v2, v3, v5, vcc_lo
	v_xor_b32_e32 v2, v2, v4
	v_sub_nc_u32_e32 v2, v2, v4
	buffer_load_dword v4, off, s[100:103], 0 offset:4 ; 4-byte Folded Reload
	v_sub_nc_u32_e32 v3, 0, v2
	v_max_i32_e32 v3, v2, v3
	s_waitcnt vmcnt(0)
	v_mul_hi_u32 v4, v3, v4
	v_mul_lo_u32 v5, v4, s81
	v_sub_nc_u32_e32 v3, v3, v5
	v_add_nc_u32_e32 v5, 1, v4
	v_subrev_nc_u32_e32 v6, s81, v3
	v_cmp_le_u32_e32 vcc_lo, s81, v3
	v_cndmask_b32_e32 v4, v4, v5, vcc_lo
	v_cndmask_b32_e32 v3, v3, v6, vcc_lo
	v_ashrrev_i32_e32 v5, 31, v2
	v_add_nc_u32_e32 v6, 1, v4
	v_cmp_le_u32_e32 vcc_lo, s81, v3
	v_xor_b32_e32 v5, s0, v5
	v_readlane_b32 s0, v127, 9
	v_cndmask_b32_e32 v3, v4, v6, vcc_lo
	v_xor_b32_e32 v3, v3, v5
	v_sub_nc_u32_e32 v3, v3, v5
	buffer_load_dword v5, off, s[100:103], 0 offset:8 ; 4-byte Folded Reload
	v_sub_nc_u32_e32 v4, 0, v3
	;; [unrolled: 20-line block ×3, first 2 shown]
	v_max_i32_e32 v5, v4, v5
	s_waitcnt vmcnt(0)
	v_mul_hi_u32 v6, v5, v6
	v_mul_lo_u32 v7, v6, s74
	v_sub_nc_u32_e32 v5, v5, v7
	v_add_nc_u32_e32 v7, 1, v6
	v_subrev_nc_u32_e32 v8, s74, v5
	v_cmp_le_u32_e32 vcc_lo, s74, v5
	v_cndmask_b32_e32 v6, v6, v7, vcc_lo
	v_cndmask_b32_e32 v5, v5, v8, vcc_lo
	v_ashrrev_i32_e32 v7, 31, v4
	v_add_nc_u32_e32 v8, 1, v6
	v_cmp_le_u32_e32 vcc_lo, s74, v5
	v_xor_b32_e32 v7, s65, v7
	v_cndmask_b32_e32 v5, v6, v8, vcc_lo
	v_mul_lo_u32 v6, v3, s47
	s_andn2_b32 vcc_lo, exec_lo, s0
	v_xor_b32_e32 v5, v5, v7
	v_sub_nc_u32_e32 v68, v2, v6
	v_sub_nc_u32_e32 v70, v5, v7
	v_mul_lo_u32 v5, v2, s60
	v_mul_lo_u32 v7, v4, s46
	;; [unrolled: 1-line block ×3, first 2 shown]
	v_sub_nc_u32_e32 v67, v0, v5
	v_sub_nc_u32_e32 v69, v3, v7
	;; [unrolled: 1-line block ×3, first 2 shown]
	s_cbranch_vccnz .LBB23_61
; %bb.5:                                ;   in Loop: Header=BB23_4 Depth=1
	v_readlane_b32 s2, v127, 2
	v_readlane_b32 s3, v127, 3
	v_mul_lo_u32 v72, v71, s77
	v_readlane_b32 s0, v127, 4
	buffer_load_dword v12, off, s[100:103], 0 offset:16 ; 4-byte Folded Reload
	v_mov_b32_e32 v76, 0
	v_add_nc_u32_e32 v4, s3, v67
	s_mov_b32 s92, 0
	v_mul_lo_u32 v2, s0, v72
	v_add_nc_u32_e32 v5, -1, v4
	v_sub_nc_u32_e32 v6, 1, v4
	v_add_nc_u32_e32 v75, s77, v72
	v_max_i32_e32 v6, v5, v6
	v_ashrrev_i32_e32 v3, 31, v2
	v_mul_hi_u32 v7, v6, v66
	v_lshlrev_b64 v[2:3], 1, v[2:3]
	v_add_co_u32 v2, vcc_lo, s72, v2
	v_mul_lo_u32 v8, v7, s85
	v_add_co_ci_u32_e64 v3, null, s73, v3, vcc_lo
	v_sub_nc_u32_e32 v6, v6, v8
	v_add_nc_u32_e32 v8, 1, v7
	v_cmp_le_u32_e32 vcc_lo, s85, v6
	v_cndmask_b32_e32 v7, v7, v8, vcc_lo
	v_subrev_nc_u32_e32 v8, s85, v6
	v_cndmask_b32_e32 v6, v6, v8, vcc_lo
	v_add_nc_u32_e32 v8, 1, v7
	v_cmp_le_u32_e32 vcc_lo, s85, v6
	v_cndmask_b32_e32 v6, v7, v8, vcc_lo
	v_ashrrev_i32_e32 v7, 31, v5
	v_xor_b32_e32 v7, s91, v7
	v_xor_b32_e32 v6, v6, v7
	v_sub_nc_u32_e32 v44, v6, v7
	v_mul_lo_u32 v6, v44, s54
	v_cmp_gt_i32_e64 s43, s51, v44
	v_cmp_eq_u32_e32 vcc_lo, v6, v5
	v_sub_nc_u32_e32 v5, 0, v4
	v_max_i32_e32 v5, v4, v5
	v_mul_hi_u32 v6, v5, v66
	v_mul_lo_u32 v7, v6, s85
	v_sub_nc_u32_e32 v5, v5, v7
	v_add_nc_u32_e32 v7, 1, v6
	v_cmp_le_u32_e64 s0, s85, v5
	v_cndmask_b32_e64 v6, v6, v7, s0
	v_subrev_nc_u32_e32 v7, s85, v5
	v_cndmask_b32_e64 v5, v5, v7, s0
	v_add_nc_u32_e32 v7, 1, v6
	v_cmp_le_u32_e64 s0, s85, v5
	v_cndmask_b32_e64 v5, v6, v7, s0
	v_ashrrev_i32_e32 v6, 31, v4
	v_xor_b32_e32 v6, s91, v6
	v_xor_b32_e32 v5, v5, v6
	v_sub_nc_u32_e32 v45, v5, v6
	v_mul_lo_u32 v5, v45, s54
	v_cmp_gt_i32_e64 s42, s51, v45
	v_cmp_eq_u32_e64 s0, v5, v4
	v_add_nc_u32_e32 v5, -2, v4
	v_sub_nc_u32_e32 v4, 2, v4
	v_max_i32_e32 v4, v5, v4
	v_mul_hi_u32 v6, v4, v66
	v_mul_lo_u32 v7, v6, s85
	v_sub_nc_u32_e32 v4, v4, v7
	v_add_nc_u32_e32 v7, 1, v6
	v_cmp_le_u32_e64 s1, s85, v4
	v_cndmask_b32_e64 v6, v6, v7, s1
	v_subrev_nc_u32_e32 v7, s85, v4
	v_cndmask_b32_e64 v4, v4, v7, s1
	v_add_nc_u32_e32 v7, 1, v6
	v_cmp_le_u32_e64 s1, s85, v4
	v_cndmask_b32_e64 v4, v6, v7, s1
	v_ashrrev_i32_e32 v6, 31, v5
	v_xor_b32_e32 v6, s91, v6
	v_xor_b32_e32 v4, v4, v6
	v_sub_nc_u32_e32 v46, v4, v6
	v_mul_lo_u32 v4, v46, s54
	v_cmp_gt_i32_e64 s44, s51, v46
	v_cmp_eq_u32_e64 s1, v4, v5
	v_add_nc_u32_e32 v5, s2, v68
	v_add_nc_u32_e32 v6, -1, v5
	v_sub_nc_u32_e32 v4, 1, v5
	v_max_i32_e32 v4, v6, v4
	v_mul_hi_u32 v7, v4, v65
	v_mul_lo_u32 v8, v7, s84
	v_sub_nc_u32_e32 v4, v4, v8
	v_add_nc_u32_e32 v8, 1, v7
	v_cmp_le_u32_e64 s2, s84, v4
	v_cndmask_b32_e64 v7, v7, v8, s2
	v_subrev_nc_u32_e32 v8, s84, v4
	v_cndmask_b32_e64 v4, v4, v8, s2
	v_add_nc_u32_e32 v8, 1, v7
	v_cmp_le_u32_e64 s2, s84, v4
	v_cndmask_b32_e64 v4, v7, v8, s2
	v_ashrrev_i32_e32 v7, 31, v6
	v_xor_b32_e32 v7, s90, v7
	v_xor_b32_e32 v4, v4, v7
	v_sub_nc_u32_e32 v4, v4, v7
	v_mul_lo_u32 v7, v4, s53
	v_or_b32_e32 v16, v45, v4
	v_or_b32_e32 v17, v44, v4
	;; [unrolled: 1-line block ×3, first 2 shown]
	v_cmp_gt_i32_e64 s40, s50, v4
	v_cmp_eq_u32_e64 s2, v7, v6
	v_sub_nc_u32_e32 v6, 0, v5
	s_and_b32 s79, s42, s40
	s_and_b32 s75, s43, s40
	;; [unrolled: 1-line block ×3, first 2 shown]
	v_max_i32_e32 v6, v5, v6
	v_mul_hi_u32 v7, v6, v65
	v_mul_lo_u32 v8, v7, s84
	v_sub_nc_u32_e32 v6, v6, v8
	v_add_nc_u32_e32 v8, 1, v7
	v_cmp_le_u32_e64 s3, s84, v6
	v_cndmask_b32_e64 v7, v7, v8, s3
	v_subrev_nc_u32_e32 v8, s84, v6
	v_cndmask_b32_e64 v6, v6, v8, s3
	v_add_nc_u32_e32 v8, 1, v7
	v_cmp_le_u32_e64 s3, s84, v6
	v_cndmask_b32_e64 v6, v7, v8, s3
	v_ashrrev_i32_e32 v7, 31, v5
	v_xor_b32_e32 v7, s90, v7
	v_xor_b32_e32 v6, v6, v7
	v_sub_nc_u32_e32 v6, v6, v7
	v_mul_lo_u32 v7, v6, s53
	v_or_b32_e32 v13, v45, v6
	v_or_b32_e32 v14, v44, v6
	;; [unrolled: 1-line block ×3, first 2 shown]
	v_cmp_gt_i32_e64 s39, s50, v6
	v_cmp_eq_u32_e64 s4, v7, v5
	v_add_nc_u32_e32 v7, -2, v5
	v_sub_nc_u32_e32 v5, 2, v5
	s_and_b32 s63, s42, s39
	s_and_b32 s64, s43, s39
	;; [unrolled: 1-line block ×3, first 2 shown]
	v_max_i32_e32 v5, v7, v5
	v_mul_hi_u32 v8, v5, v65
	v_mul_lo_u32 v9, v8, s84
	v_sub_nc_u32_e32 v5, v5, v9
	v_add_nc_u32_e32 v9, 1, v8
	v_cmp_le_u32_e64 s3, s84, v5
	v_cndmask_b32_e64 v8, v8, v9, s3
	v_subrev_nc_u32_e32 v9, s84, v5
	v_cndmask_b32_e64 v5, v5, v9, s3
	v_add_nc_u32_e32 v9, 1, v8
	v_cmp_le_u32_e64 s3, s84, v5
	v_cndmask_b32_e64 v5, v8, v9, s3
	v_ashrrev_i32_e32 v8, 31, v7
	v_add_nc_u32_e32 v9, s55, v69
	v_xor_b32_e32 v8, s90, v8
	v_xor_b32_e32 v5, v5, v8
	v_sub_nc_u32_e32 v5, v5, v8
	v_mul_lo_u32 v8, v5, s53
	v_cmp_gt_i32_e64 s41, s50, v5
	s_and_b32 s87, s42, s41
	s_and_b32 s88, s43, s41
	v_cmp_eq_u32_e64 s3, v8, v7
	v_add_nc_u32_e32 v8, -1, v9
	v_sub_nc_u32_e32 v7, 1, v9
	s_and_b32 s62, s44, s41
	v_max_i32_e32 v7, v8, v7
	s_waitcnt vmcnt(0)
	v_mul_hi_u32 v10, v7, v12
	v_mul_lo_u32 v11, v10, s83
	v_sub_nc_u32_e32 v7, v7, v11
	v_add_nc_u32_e32 v11, 1, v10
	v_cmp_le_u32_e64 s5, s83, v7
	v_cndmask_b32_e64 v10, v10, v11, s5
	v_subrev_nc_u32_e32 v11, s83, v7
	v_cndmask_b32_e64 v7, v7, v11, s5
	v_add_nc_u32_e32 v11, 1, v10
	v_cmp_le_u32_e64 s5, s83, v7
	v_cndmask_b32_e64 v7, v10, v11, s5
	v_ashrrev_i32_e32 v10, 31, v8
	v_xor_b32_e32 v10, s89, v10
	v_xor_b32_e32 v7, v7, v10
	v_sub_nc_u32_e32 v7, v7, v10
	v_mul_lo_u32 v10, v7, s52
	v_cmp_gt_i32_e64 s37, s49, v7
	v_cmp_eq_u32_e64 s20, v10, v8
	v_sub_nc_u32_e32 v8, 0, v9
	v_max_i32_e32 v8, v9, v8
	v_mul_hi_u32 v10, v8, v12
	v_mul_lo_u32 v11, v10, s83
	v_sub_nc_u32_e32 v8, v8, v11
	v_add_nc_u32_e32 v11, 1, v10
	v_cmp_le_u32_e64 s5, s83, v8
	v_cndmask_b32_e64 v10, v10, v11, s5
	v_subrev_nc_u32_e32 v11, s83, v8
	v_cndmask_b32_e64 v8, v8, v11, s5
	v_add_nc_u32_e32 v11, 1, v10
	v_cmp_le_u32_e64 s5, s83, v8
	v_cndmask_b32_e64 v8, v10, v11, s5
	v_ashrrev_i32_e32 v10, 31, v9
	v_xor_b32_e32 v10, s89, v10
	v_xor_b32_e32 v8, v8, v10
	v_sub_nc_u32_e32 v8, v8, v10
	v_mul_lo_u32 v10, v8, s52
	v_cmp_gt_i32_e64 s38, s49, v8
	v_cmp_eq_u32_e64 s11, v10, v9
	v_add_nc_u32_e32 v10, -2, v9
	v_sub_nc_u32_e32 v9, 2, v9
	s_and_b32 s48, s11, s4
	v_max_i32_e32 v9, v10, v9
	v_mul_hi_u32 v11, v9, v12
	v_mul_lo_u32 v12, v11, s83
	v_sub_nc_u32_e32 v9, v9, v12
	v_add_nc_u32_e32 v12, 1, v11
	v_cmp_le_u32_e64 s5, s83, v9
	v_cndmask_b32_e64 v11, v11, v12, s5
	v_subrev_nc_u32_e32 v12, s83, v9
	v_cndmask_b32_e64 v9, v9, v12, s5
	v_add_nc_u32_e32 v12, 1, v11
	v_cmp_le_u32_e64 s5, s83, v9
	v_cndmask_b32_e64 v9, v11, v12, s5
	v_ashrrev_i32_e32 v11, 31, v10
	v_xor_b32_e32 v11, s89, v11
	v_xor_b32_e32 v9, v9, v11
	v_sub_nc_u32_e32 v9, v9, v11
	v_mul_lo_u32 v11, v9, s52
	v_cmp_gt_i32_e64 s28, s49, v9
	v_cmp_eq_u32_e64 s23, v11, v10
	v_mul_lo_u32 v10, s68, v70
	v_ashrrev_i32_e32 v11, 31, v10
	v_lshlrev_b64 v[10:11], 1, v[10:11]
	v_add_co_u32 v73, s5, s66, v10
	v_or_b32_e32 v10, v13, v8
	v_add_co_ci_u32_e64 v74, null, s67, v11, s5
	v_cmp_lt_i32_e64 s7, -1, v10
	v_or_b32_e32 v10, v14, v8
	s_and_b32 s7, s63, s7
	v_cmp_lt_i32_e64 s5, -1, v10
	v_or_b32_e32 v10, v15, v8
	s_and_b32 s93, s7, s38
	s_and_b32 s7, s64, s5
	v_cmp_lt_i32_e64 s6, -1, v10
	v_or_b32_e32 v10, v16, v8
	s_and_b32 s94, s7, s38
	s_and_b32 s5, s48, s0
	s_and_b32 s7, s78, s6
	v_cmp_lt_i32_e64 s10, -1, v10
	v_or_b32_e32 v10, v17, v8
	s_and_b32 s6, s48, vcc_lo
	s_and_b32 s39, s7, s38
	s_and_b32 s7, s48, s1
	;; [unrolled: 1-line block ×3, first 2 shown]
	v_cmp_lt_i32_e64 s8, -1, v10
	v_or_b32_e32 v10, v18, v8
	s_and_b32 s95, s10, s38
	s_and_b32 s48, s11, s2
	;; [unrolled: 1-line block ×3, first 2 shown]
	v_cmp_lt_i32_e64 s9, -1, v10
	v_or_b32_e32 v10, v45, v5
	s_and_b32 s96, s10, s38
	s_and_b32 s8, s48, s0
	;; [unrolled: 1-line block ×3, first 2 shown]
	v_or_b32_e32 v11, v10, v8
	s_and_b32 s9, s48, vcc_lo
	s_and_b32 s40, s10, s38
	s_and_b32 s10, s48, s1
	;; [unrolled: 1-line block ×3, first 2 shown]
	v_cmp_lt_i32_e64 s25, -1, v11
	v_or_b32_e32 v11, v44, v5
	s_and_b32 s11, s48, s0
	s_and_b32 s25, s87, s25
	v_or_b32_e32 v12, v11, v8
	s_and_b32 s42, s25, s38
	s_and_b32 s25, s20, s4
	v_cmp_lt_i32_e64 s12, -1, v12
	v_or_b32_e32 v12, v46, v5
	s_and_b32 s12, s88, s12
	v_or_b32_e32 v19, v12, v8
	v_mul_lo_u32 v8, v8, s50
	s_and_b32 s43, s12, s38
	s_and_b32 s12, s48, vcc_lo
	v_cmp_lt_i32_e64 s13, -1, v19
	v_or_b32_e32 v19, v13, v7
	v_or_b32_e32 v13, v13, v9
	s_and_b32 s13, s62, s13
	v_cmp_lt_i32_e64 s16, -1, v19
	v_or_b32_e32 v19, v14, v7
	v_cmp_lt_i32_e64 s35, -1, v13
	v_or_b32_e32 v13, v14, v9
	v_add_nc_u32_e32 v14, v4, v8
	s_and_b32 s16, s63, s16
	v_cmp_lt_i32_e64 s14, -1, v19
	v_or_b32_e32 v19, v15, v7
	v_cmp_lt_i32_e64 s36, -1, v13
	v_or_b32_e32 v13, v15, v9
	v_add_nc_u32_e32 v15, v5, v8
	v_mul_lo_u32 v14, v14, s51
	v_cmp_lt_i32_e64 s15, -1, v19
	v_or_b32_e32 v19, v16, v7
	v_cmp_lt_i32_e64 s24, -1, v13
	v_or_b32_e32 v13, v16, v9
	v_mul_lo_u32 v21, v15, s51
	s_and_b32 s41, s16, s37
	v_cmp_lt_i32_e64 s19, -1, v19
	v_or_b32_e32 v19, v17, v7
	v_cmp_lt_i32_e64 s26, -1, v13
	v_or_b32_e32 v13, v17, v9
	s_and_b32 s16, s64, s14
	s_and_b32 s19, s79, s19
	v_cmp_lt_i32_e64 s17, -1, v19
	v_or_b32_e32 v19, v18, v7
	v_cmp_lt_i32_e64 s27, -1, v13
	v_or_b32_e32 v13, v18, v9
	s_and_b32 s44, s16, s37
	s_and_b32 s16, s78, s15
	v_cmp_lt_i32_e64 s18, -1, v19
	v_or_b32_e32 v19, v10, v7
	v_or_b32_e32 v10, v10, v9
	v_cmp_lt_i32_e64 s29, -1, v13
	v_add_nc_u32_e32 v13, v6, v8
	s_and_b32 s98, s19, s37
	v_cmp_lt_i32_e64 s22, -1, v19
	v_or_b32_e32 v19, v11, v7
	v_or_b32_e32 v11, v11, v9
	v_mul_lo_u32 v8, v13, s51
	s_and_b32 s19, s75, s17
	v_cmp_lt_i32_e64 s30, -1, v10
	v_cmp_lt_i32_e64 s21, -1, v19
	v_or_b32_e32 v19, v12, v7
	v_or_b32_e32 v12, v12, v9
	v_mul_lo_u32 v9, v9, s50
	v_mul_lo_u32 v7, v7, s50
	v_add_nc_u32_e32 v10, v45, v14
	v_cmp_lt_i32_e64 s34, -1, v19
	v_cmp_lt_i32_e64 s33, -1, v12
	v_add_nc_u32_e32 v12, v44, v14
	v_add_nc_u32_e32 v14, v46, v14
	;; [unrolled: 1-line block ×9, first 2 shown]
	v_mul_lo_u32 v49, v38, s51
	v_mul_lo_u32 v47, v47, s51
	;; [unrolled: 1-line block ×6, first 2 shown]
	v_add_nc_u32_e32 v4, v45, v8
	v_add_nc_u32_e32 v6, v44, v8
	;; [unrolled: 1-line block ×12, first 2 shown]
	s_and_b32 s14, s25, s0
	v_add_nc_u32_e32 v24, v44, v27
	s_and_b32 s15, s25, vcc_lo
	s_and_b32 s97, s16, s37
	v_add_nc_u32_e32 v26, v46, v27
	s_and_b32 s16, s25, s1
	s_and_b32 s25, s20, s2
	v_add_nc_u32_e32 v28, v45, v33
	s_and_b32 s99, s19, s37
	v_add_nc_u32_e32 v30, v44, v33
	;; [unrolled: 2-line block ×4, first 2 shown]
	v_add_nc_u32_e32 v36, v44, v39
	v_add_nc_u32_e32 v38, v46, v39
	;; [unrolled: 1-line block ×5, first 2 shown]
	s_and_b32 s17, s25, s0
	s_and_b32 s18, s25, vcc_lo
	s_and_b32 s104, s19, s37
	s_and_b32 s19, s25, s1
	;; [unrolled: 1-line block ×3, first 2 shown]
	s_and_b32 vcc_hi, s22, s37
	s_and_b32 s21, s88, s21
	s_and_b32 s22, s62, s34
	;; [unrolled: 1-line block ×3, first 2 shown]
	v_ashrrev_i32_e32 v50, 31, v49
	v_ashrrev_i32_e32 v52, 31, v51
	;; [unrolled: 1-line block ×4, first 2 shown]
	s_and_b32 s38, s13, s38
	s_and_b32 s13, s48, s1
	;; [unrolled: 1-line block ×4, first 2 shown]
	s_and_b32 s21, s25, vcc_lo
	s_and_b32 s34, s22, s37
	s_and_b32 s22, s25, s1
	;; [unrolled: 1-line block ×10, first 2 shown]
	v_cmp_lt_i32_e64 s31, -1, v11
	v_ashrrev_i32_e32 v5, 31, v4
	v_ashrrev_i32_e32 v7, 31, v6
	;; [unrolled: 1-line block ×23, first 2 shown]
	s_and_b32 s4, s25, s0
	s_and_b32 s24, s25, vcc_lo
	s_and_b32 s25, s25, s1
	s_and_b32 s2, s63, s0
	s_and_b32 s79, s26, s28
	s_and_b32 s26, s63, vcc_lo
	s_and_b32 s29, s27, s28
	s_and_b32 s27, s63, s1
	s_and_b32 s0, s3, s0
	s_and_b32 vcc_lo, s3, vcc_lo
	s_and_b32 s1, s3, s1
	s_mul_i32 s3, s69, s77
	v_lshlrev_b64 v[44:45], 1, v[49:50]
	v_lshlrev_b64 v[46:47], 1, v[51:52]
	;; [unrolled: 1-line block ×4, first 2 shown]
	v_mul_lo_u32 v58, s3, v71
	s_and_b32 s30, s87, s30
	v_lshlrev_b64 v[4:5], 1, v[4:5]
	v_lshlrev_b64 v[6:7], 1, v[6:7]
	v_lshlrev_b64 v[8:9], 1, v[8:9]
	v_lshlrev_b64 v[10:11], 1, v[10:11]
	v_lshlrev_b64 v[12:13], 1, v[12:13]
	v_lshlrev_b64 v[14:15], 1, v[14:15]
	v_lshlrev_b64 v[16:17], 1, v[16:17]
	v_lshlrev_b64 v[18:19], 1, v[18:19]
	v_lshlrev_b64 v[20:21], 1, v[20:21]
	v_lshlrev_b64 v[22:23], 1, v[22:23]
	v_lshlrev_b64 v[24:25], 1, v[24:25]
	v_lshlrev_b64 v[26:27], 1, v[26:27]
	v_lshlrev_b64 v[28:29], 1, v[28:29]
	v_lshlrev_b64 v[30:31], 1, v[30:31]
	v_lshlrev_b64 v[32:33], 1, v[32:33]
	v_lshlrev_b64 v[34:35], 1, v[34:35]
	v_lshlrev_b64 v[36:37], 1, v[36:37]
	v_lshlrev_b64 v[38:39], 1, v[38:39]
	v_lshlrev_b64 v[40:41], 1, v[40:41]
	v_lshlrev_b64 v[42:43], 1, v[42:43]
	v_lshlrev_b64 v[50:51], 1, v[55:56]
	v_lshlrev_b64 v[54:55], 1, v[59:60]
	v_lshlrev_b64 v[56:57], 1, v[61:62]
	s_and_b32 s36, s64, s36
	s_and_b32 s23, s30, s28
	;; [unrolled: 1-line block ×9, first 2 shown]
	s_branch .LBB23_7
.LBB23_6:                               ;   in Loop: Header=BB23_7 Depth=2
	s_or_b32 exec_lo, exec_lo, s31
	s_waitcnt vmcnt(26)
	v_fma_mix_f32 v59, v59, v77, v76 op_sel_hi:[0,1,0]
	v_add_nc_u32_e32 v72, 1, v72
	v_add_co_u32 v2, s3, v2, 54
	v_add_co_ci_u32_e64 v3, null, 0, v3, s3
	v_cndmask_b32_e64 v59, v76, v59, s5
	v_cmp_ge_i32_e64 s3, v72, v75
	v_add_nc_u32_e32 v58, s69, v58
	s_waitcnt vmcnt(25)
	v_fma_mix_f32 v76, v82, v80, v59 op_sel_hi:[0,1,0]
	s_or_b32 s92, s3, s92
	v_cndmask_b32_e64 v59, v59, v76, s6
	s_waitcnt vmcnt(24)
	v_fma_mix_f32 v76, v81, v83, v59 op_sel_hi:[0,1,0]
	v_cndmask_b32_e64 v59, v59, v76, s7
	s_waitcnt vmcnt(23)
	v_fma_mix_f32 v76, v86, v84, v59 op_sel_hi:[0,1,0]
	;; [unrolled: 3-line block ×24, first 2 shown]
	v_cndmask_b32_e32 v59, v59, v60, vcc_lo
	s_waitcnt vmcnt(0)
	v_fma_mix_f32 v60, v62, v64, v59 op_sel_hi:[0,1,0]
	v_cndmask_b32_e64 v76, v59, v60, s1
	s_andn2_b32 exec_lo, exec_lo, s92
	s_cbranch_execz .LBB23_2
.LBB23_7:                               ;   Parent Loop BB23_4 Depth=1
                                        ; =>  This Inner Loop Header: Depth=2
	global_load_ushort v77, v[2:3], off
	v_ashrrev_i32_e32 v59, 31, v58
	v_lshlrev_b64 v[59:60], 1, v[58:59]
	v_add_co_u32 v78, s3, v73, v59
	v_add_co_ci_u32_e64 v79, null, v74, v60, s3
	v_mov_b32_e32 v59, 0
	s_and_saveexec_b32 s31, s93
	s_cbranch_execz .LBB23_9
; %bb.8:                                ;   in Loop: Header=BB23_7 Depth=2
	v_add_co_u32 v59, s3, v78, v4
	v_add_co_ci_u32_e64 v60, null, v79, v5, s3
	global_load_ushort v59, v[59:60], off
	s_waitcnt vmcnt(0)
	v_cvt_f32_f16_e32 v59, v59
.LBB23_9:                               ;   in Loop: Header=BB23_7 Depth=2
	s_or_b32 exec_lo, exec_lo, s31
	global_load_ushort v80, v[2:3], off offset:2
	v_mov_b32_e32 v81, 0
	v_mov_b32_e32 v82, 0
	s_and_saveexec_b32 s31, s94
	s_cbranch_execz .LBB23_11
; %bb.10:                               ;   in Loop: Header=BB23_7 Depth=2
	v_add_co_u32 v60, s3, v78, v6
	v_add_co_ci_u32_e64 v61, null, v79, v7, s3
	global_load_ushort v60, v[60:61], off
	s_waitcnt vmcnt(0)
	v_cvt_f32_f16_e32 v82, v60
.LBB23_11:                              ;   in Loop: Header=BB23_7 Depth=2
	s_or_b32 exec_lo, exec_lo, s31
	global_load_ushort v83, v[2:3], off offset:4
	s_and_saveexec_b32 s31, s39
	s_cbranch_execz .LBB23_13
; %bb.12:                               ;   in Loop: Header=BB23_7 Depth=2
	v_add_co_u32 v60, s3, v78, v8
	v_add_co_ci_u32_e64 v61, null, v79, v9, s3
	global_load_ushort v60, v[60:61], off
	s_waitcnt vmcnt(0)
	v_cvt_f32_f16_e32 v81, v60
.LBB23_13:                              ;   in Loop: Header=BB23_7 Depth=2
	s_or_b32 exec_lo, exec_lo, s31
	global_load_ushort v84, v[2:3], off offset:6
	v_mov_b32_e32 v85, 0
	v_mov_b32_e32 v86, 0
	s_and_saveexec_b32 s31, s95
	s_cbranch_execz .LBB23_15
; %bb.14:                               ;   in Loop: Header=BB23_7 Depth=2
	v_add_co_u32 v60, s3, v78, v10
	v_add_co_ci_u32_e64 v61, null, v79, v11, s3
	global_load_ushort v60, v[60:61], off
	s_waitcnt vmcnt(0)
	v_cvt_f32_f16_e32 v86, v60
.LBB23_15:                              ;   in Loop: Header=BB23_7 Depth=2
	s_or_b32 exec_lo, exec_lo, s31
	global_load_ushort v87, v[2:3], off offset:8
	s_and_saveexec_b32 s31, s96
	s_cbranch_execz .LBB23_17
; %bb.16:                               ;   in Loop: Header=BB23_7 Depth=2
	v_add_co_u32 v60, s3, v78, v12
	v_add_co_ci_u32_e64 v61, null, v79, v13, s3
	global_load_ushort v60, v[60:61], off
	s_waitcnt vmcnt(0)
	v_cvt_f32_f16_e32 v85, v60
.LBB23_17:                              ;   in Loop: Header=BB23_7 Depth=2
	;; [unrolled: 24-line block ×7, first 2 shown]
	s_or_b32 exec_lo, exec_lo, s31
	global_load_ushort v108, v[2:3], off offset:30
	v_mov_b32_e32 v109, 0
	v_mov_b32_e32 v110, 0
	s_and_saveexec_b32 s31, vcc_hi
	s_cbranch_execz .LBB23_39
; %bb.38:                               ;   in Loop: Header=BB23_7 Depth=2
	v_add_co_u32 v60, s3, v78, v34
	v_add_co_ci_u32_e64 v61, null, v79, v35, s3
	global_load_ushort v60, v[60:61], off
	s_waitcnt vmcnt(0)
	v_cvt_f32_f16_e32 v110, v60
.LBB23_39:                              ;   in Loop: Header=BB23_7 Depth=2
	s_or_b32 exec_lo, exec_lo, s31
	global_load_ushort v111, v[2:3], off offset:32
	s_and_saveexec_b32 s31, s48
	s_cbranch_execz .LBB23_41
; %bb.40:                               ;   in Loop: Header=BB23_7 Depth=2
	v_add_co_u32 v60, s3, v78, v36
	v_add_co_ci_u32_e64 v61, null, v79, v37, s3
	global_load_ushort v60, v[60:61], off
	s_waitcnt vmcnt(0)
	v_cvt_f32_f16_e32 v109, v60
.LBB23_41:                              ;   in Loop: Header=BB23_7 Depth=2
	s_or_b32 exec_lo, exec_lo, s31
	global_load_ushort v112, v[2:3], off offset:34
	v_mov_b32_e32 v113, 0
	v_mov_b32_e32 v114, 0
	s_and_saveexec_b32 s31, s34
	s_cbranch_execz .LBB23_43
; %bb.42:                               ;   in Loop: Header=BB23_7 Depth=2
	v_add_co_u32 v60, s3, v78, v38
	v_add_co_ci_u32_e64 v61, null, v79, v39, s3
	global_load_ushort v60, v[60:61], off
	s_waitcnt vmcnt(0)
	v_cvt_f32_f16_e32 v114, v60
.LBB23_43:                              ;   in Loop: Header=BB23_7 Depth=2
	s_or_b32 exec_lo, exec_lo, s31
	global_load_ushort v115, v[2:3], off offset:36
	s_and_saveexec_b32 s31, s35
	s_cbranch_execz .LBB23_45
; %bb.44:                               ;   in Loop: Header=BB23_7 Depth=2
	v_add_co_u32 v60, s3, v78, v40
	v_add_co_ci_u32_e64 v61, null, v79, v41, s3
	global_load_ushort v60, v[60:61], off
	s_waitcnt vmcnt(0)
	v_cvt_f32_f16_e32 v113, v60
.LBB23_45:                              ;   in Loop: Header=BB23_7 Depth=2
	s_or_b32 exec_lo, exec_lo, s31
	global_load_ushort v116, v[2:3], off offset:38
	v_mov_b32_e32 v117, 0
	v_mov_b32_e32 v118, 0
	s_and_saveexec_b32 s31, s36
	;; [unrolled: 24-line block ×5, first 2 shown]
	s_cbranch_execz .LBB23_59
; %bb.58:                               ;   in Loop: Header=BB23_7 Depth=2
	v_add_co_u32 v63, s3, v78, v54
	v_add_co_ci_u32_e64 v64, null, v79, v55, s3
	global_load_ushort v63, v[63:64], off
	s_waitcnt vmcnt(0)
	v_cvt_f32_f16_e32 v63, v63
.LBB23_59:                              ;   in Loop: Header=BB23_7 Depth=2
	s_or_b32 exec_lo, exec_lo, s31
	global_load_ushort v64, v[2:3], off offset:52
	s_and_saveexec_b32 s31, s28
	s_cbranch_execz .LBB23_6
; %bb.60:                               ;   in Loop: Header=BB23_7 Depth=2
	v_add_co_u32 v78, s3, v78, v56
	v_add_co_ci_u32_e64 v79, null, v79, v57, s3
	global_load_ushort v62, v[78:79], off
	s_waitcnt vmcnt(0)
	v_cvt_f32_f16_e32 v62, v62
	s_branch .LBB23_6
.LBB23_61:                              ;   in Loop: Header=BB23_4 Depth=1
	v_mov_b32_e32 v2, 0
	s_branch .LBB23_3
.LBB23_62:
	s_endpgm
	.section	.rodata,"a",@progbits
	.p2align	6, 0x0
	.amdhsa_kernel _ZN2at6native12_GLOBAL__N_143conv_depthwise3d_cuda_backward_input_kernelIN3c104HalfEfLi3ELi3ELi3ELi1ELi1ELi1ELin1ELin1ELin1EEEvN5torch10headeronly6detail27GenericPackedTensorAccessorINS7_14TensorAccessorINS3_8ArrayRefIlEEKT_Lm4ENS6_16DefaultPtrTraitsEiEENS_6detail16IndexBoundsCheckILm5EiEESD_Lm5ESE_iEENS8_INS9_ISB_SC_Lm4ESE_iEESI_SC_Lm5ESE_iEESJ_iiiiiiiii
		.amdhsa_group_segment_fixed_size 0
		.amdhsa_private_segment_fixed_size 24
		.amdhsa_kernarg_size 440
		.amdhsa_user_sgpr_count 6
		.amdhsa_user_sgpr_private_segment_buffer 1
		.amdhsa_user_sgpr_dispatch_ptr 0
		.amdhsa_user_sgpr_queue_ptr 0
		.amdhsa_user_sgpr_kernarg_segment_ptr 1
		.amdhsa_user_sgpr_dispatch_id 0
		.amdhsa_user_sgpr_flat_scratch_init 0
		.amdhsa_user_sgpr_private_segment_size 0
		.amdhsa_wavefront_size32 1
		.amdhsa_uses_dynamic_stack 0
		.amdhsa_system_sgpr_private_segment_wavefront_offset 1
		.amdhsa_system_sgpr_workgroup_id_x 1
		.amdhsa_system_sgpr_workgroup_id_y 0
		.amdhsa_system_sgpr_workgroup_id_z 0
		.amdhsa_system_sgpr_workgroup_info 0
		.amdhsa_system_vgpr_workitem_id 0
		.amdhsa_next_free_vgpr 128
		.amdhsa_next_free_sgpr 105
		.amdhsa_reserve_vcc 1
		.amdhsa_reserve_flat_scratch 0
		.amdhsa_float_round_mode_32 0
		.amdhsa_float_round_mode_16_64 0
		.amdhsa_float_denorm_mode_32 3
		.amdhsa_float_denorm_mode_16_64 3
		.amdhsa_dx10_clamp 1
		.amdhsa_ieee_mode 1
		.amdhsa_fp16_overflow 0
		.amdhsa_workgroup_processor_mode 1
		.amdhsa_memory_ordered 1
		.amdhsa_forward_progress 1
		.amdhsa_shared_vgpr_count 0
		.amdhsa_exception_fp_ieee_invalid_op 0
		.amdhsa_exception_fp_denorm_src 0
		.amdhsa_exception_fp_ieee_div_zero 0
		.amdhsa_exception_fp_ieee_overflow 0
		.amdhsa_exception_fp_ieee_underflow 0
		.amdhsa_exception_fp_ieee_inexact 0
		.amdhsa_exception_int_div_zero 0
	.end_amdhsa_kernel
	.section	.text._ZN2at6native12_GLOBAL__N_143conv_depthwise3d_cuda_backward_input_kernelIN3c104HalfEfLi3ELi3ELi3ELi1ELi1ELi1ELin1ELin1ELin1EEEvN5torch10headeronly6detail27GenericPackedTensorAccessorINS7_14TensorAccessorINS3_8ArrayRefIlEEKT_Lm4ENS6_16DefaultPtrTraitsEiEENS_6detail16IndexBoundsCheckILm5EiEESD_Lm5ESE_iEENS8_INS9_ISB_SC_Lm4ESE_iEESI_SC_Lm5ESE_iEESJ_iiiiiiiii,"axG",@progbits,_ZN2at6native12_GLOBAL__N_143conv_depthwise3d_cuda_backward_input_kernelIN3c104HalfEfLi3ELi3ELi3ELi1ELi1ELi1ELin1ELin1ELin1EEEvN5torch10headeronly6detail27GenericPackedTensorAccessorINS7_14TensorAccessorINS3_8ArrayRefIlEEKT_Lm4ENS6_16DefaultPtrTraitsEiEENS_6detail16IndexBoundsCheckILm5EiEESD_Lm5ESE_iEENS8_INS9_ISB_SC_Lm4ESE_iEESI_SC_Lm5ESE_iEESJ_iiiiiiiii,comdat
.Lfunc_end23:
	.size	_ZN2at6native12_GLOBAL__N_143conv_depthwise3d_cuda_backward_input_kernelIN3c104HalfEfLi3ELi3ELi3ELi1ELi1ELi1ELin1ELin1ELin1EEEvN5torch10headeronly6detail27GenericPackedTensorAccessorINS7_14TensorAccessorINS3_8ArrayRefIlEEKT_Lm4ENS6_16DefaultPtrTraitsEiEENS_6detail16IndexBoundsCheckILm5EiEESD_Lm5ESE_iEENS8_INS9_ISB_SC_Lm4ESE_iEESI_SC_Lm5ESE_iEESJ_iiiiiiiii, .Lfunc_end23-_ZN2at6native12_GLOBAL__N_143conv_depthwise3d_cuda_backward_input_kernelIN3c104HalfEfLi3ELi3ELi3ELi1ELi1ELi1ELin1ELin1ELin1EEEvN5torch10headeronly6detail27GenericPackedTensorAccessorINS7_14TensorAccessorINS3_8ArrayRefIlEEKT_Lm4ENS6_16DefaultPtrTraitsEiEENS_6detail16IndexBoundsCheckILm5EiEESD_Lm5ESE_iEENS8_INS9_ISB_SC_Lm4ESE_iEESI_SC_Lm5ESE_iEESJ_iiiiiiiii
                                        ; -- End function
	.set _ZN2at6native12_GLOBAL__N_143conv_depthwise3d_cuda_backward_input_kernelIN3c104HalfEfLi3ELi3ELi3ELi1ELi1ELi1ELin1ELin1ELin1EEEvN5torch10headeronly6detail27GenericPackedTensorAccessorINS7_14TensorAccessorINS3_8ArrayRefIlEEKT_Lm4ENS6_16DefaultPtrTraitsEiEENS_6detail16IndexBoundsCheckILm5EiEESD_Lm5ESE_iEENS8_INS9_ISB_SC_Lm4ESE_iEESI_SC_Lm5ESE_iEESJ_iiiiiiiii.num_vgpr, 128
	.set _ZN2at6native12_GLOBAL__N_143conv_depthwise3d_cuda_backward_input_kernelIN3c104HalfEfLi3ELi3ELi3ELi1ELi1ELi1ELin1ELin1ELin1EEEvN5torch10headeronly6detail27GenericPackedTensorAccessorINS7_14TensorAccessorINS3_8ArrayRefIlEEKT_Lm4ENS6_16DefaultPtrTraitsEiEENS_6detail16IndexBoundsCheckILm5EiEESD_Lm5ESE_iEENS8_INS9_ISB_SC_Lm4ESE_iEESI_SC_Lm5ESE_iEESJ_iiiiiiiii.num_agpr, 0
	.set _ZN2at6native12_GLOBAL__N_143conv_depthwise3d_cuda_backward_input_kernelIN3c104HalfEfLi3ELi3ELi3ELi1ELi1ELi1ELin1ELin1ELin1EEEvN5torch10headeronly6detail27GenericPackedTensorAccessorINS7_14TensorAccessorINS3_8ArrayRefIlEEKT_Lm4ENS6_16DefaultPtrTraitsEiEENS_6detail16IndexBoundsCheckILm5EiEESD_Lm5ESE_iEENS8_INS9_ISB_SC_Lm4ESE_iEESI_SC_Lm5ESE_iEESJ_iiiiiiiii.numbered_sgpr, 105
	.set _ZN2at6native12_GLOBAL__N_143conv_depthwise3d_cuda_backward_input_kernelIN3c104HalfEfLi3ELi3ELi3ELi1ELi1ELi1ELin1ELin1ELin1EEEvN5torch10headeronly6detail27GenericPackedTensorAccessorINS7_14TensorAccessorINS3_8ArrayRefIlEEKT_Lm4ENS6_16DefaultPtrTraitsEiEENS_6detail16IndexBoundsCheckILm5EiEESD_Lm5ESE_iEENS8_INS9_ISB_SC_Lm4ESE_iEESI_SC_Lm5ESE_iEESJ_iiiiiiiii.num_named_barrier, 0
	.set _ZN2at6native12_GLOBAL__N_143conv_depthwise3d_cuda_backward_input_kernelIN3c104HalfEfLi3ELi3ELi3ELi1ELi1ELi1ELin1ELin1ELin1EEEvN5torch10headeronly6detail27GenericPackedTensorAccessorINS7_14TensorAccessorINS3_8ArrayRefIlEEKT_Lm4ENS6_16DefaultPtrTraitsEiEENS_6detail16IndexBoundsCheckILm5EiEESD_Lm5ESE_iEENS8_INS9_ISB_SC_Lm4ESE_iEESI_SC_Lm5ESE_iEESJ_iiiiiiiii.private_seg_size, 24
	.set _ZN2at6native12_GLOBAL__N_143conv_depthwise3d_cuda_backward_input_kernelIN3c104HalfEfLi3ELi3ELi3ELi1ELi1ELi1ELin1ELin1ELin1EEEvN5torch10headeronly6detail27GenericPackedTensorAccessorINS7_14TensorAccessorINS3_8ArrayRefIlEEKT_Lm4ENS6_16DefaultPtrTraitsEiEENS_6detail16IndexBoundsCheckILm5EiEESD_Lm5ESE_iEENS8_INS9_ISB_SC_Lm4ESE_iEESI_SC_Lm5ESE_iEESJ_iiiiiiiii.uses_vcc, 1
	.set _ZN2at6native12_GLOBAL__N_143conv_depthwise3d_cuda_backward_input_kernelIN3c104HalfEfLi3ELi3ELi3ELi1ELi1ELi1ELin1ELin1ELin1EEEvN5torch10headeronly6detail27GenericPackedTensorAccessorINS7_14TensorAccessorINS3_8ArrayRefIlEEKT_Lm4ENS6_16DefaultPtrTraitsEiEENS_6detail16IndexBoundsCheckILm5EiEESD_Lm5ESE_iEENS8_INS9_ISB_SC_Lm4ESE_iEESI_SC_Lm5ESE_iEESJ_iiiiiiiii.uses_flat_scratch, 0
	.set _ZN2at6native12_GLOBAL__N_143conv_depthwise3d_cuda_backward_input_kernelIN3c104HalfEfLi3ELi3ELi3ELi1ELi1ELi1ELin1ELin1ELin1EEEvN5torch10headeronly6detail27GenericPackedTensorAccessorINS7_14TensorAccessorINS3_8ArrayRefIlEEKT_Lm4ENS6_16DefaultPtrTraitsEiEENS_6detail16IndexBoundsCheckILm5EiEESD_Lm5ESE_iEENS8_INS9_ISB_SC_Lm4ESE_iEESI_SC_Lm5ESE_iEESJ_iiiiiiiii.has_dyn_sized_stack, 0
	.set _ZN2at6native12_GLOBAL__N_143conv_depthwise3d_cuda_backward_input_kernelIN3c104HalfEfLi3ELi3ELi3ELi1ELi1ELi1ELin1ELin1ELin1EEEvN5torch10headeronly6detail27GenericPackedTensorAccessorINS7_14TensorAccessorINS3_8ArrayRefIlEEKT_Lm4ENS6_16DefaultPtrTraitsEiEENS_6detail16IndexBoundsCheckILm5EiEESD_Lm5ESE_iEENS8_INS9_ISB_SC_Lm4ESE_iEESI_SC_Lm5ESE_iEESJ_iiiiiiiii.has_recursion, 0
	.set _ZN2at6native12_GLOBAL__N_143conv_depthwise3d_cuda_backward_input_kernelIN3c104HalfEfLi3ELi3ELi3ELi1ELi1ELi1ELin1ELin1ELin1EEEvN5torch10headeronly6detail27GenericPackedTensorAccessorINS7_14TensorAccessorINS3_8ArrayRefIlEEKT_Lm4ENS6_16DefaultPtrTraitsEiEENS_6detail16IndexBoundsCheckILm5EiEESD_Lm5ESE_iEENS8_INS9_ISB_SC_Lm4ESE_iEESI_SC_Lm5ESE_iEESJ_iiiiiiiii.has_indirect_call, 0
	.section	.AMDGPU.csdata,"",@progbits
; Kernel info:
; codeLenInByte = 6164
; TotalNumSgprs: 107
; NumVgprs: 128
; ScratchSize: 24
; MemoryBound: 0
; FloatMode: 240
; IeeeMode: 1
; LDSByteSize: 0 bytes/workgroup (compile time only)
; SGPRBlocks: 0
; VGPRBlocks: 15
; NumSGPRsForWavesPerEU: 107
; NumVGPRsForWavesPerEU: 128
; Occupancy: 8
; WaveLimiterHint : 0
; COMPUTE_PGM_RSRC2:SCRATCH_EN: 1
; COMPUTE_PGM_RSRC2:USER_SGPR: 6
; COMPUTE_PGM_RSRC2:TRAP_HANDLER: 0
; COMPUTE_PGM_RSRC2:TGID_X_EN: 1
; COMPUTE_PGM_RSRC2:TGID_Y_EN: 0
; COMPUTE_PGM_RSRC2:TGID_Z_EN: 0
; COMPUTE_PGM_RSRC2:TIDIG_COMP_CNT: 0
	.section	.text._ZN2at6native12_GLOBAL__N_143conv_depthwise3d_cuda_backward_input_kernelIN3c104HalfEfLi3ELi3ELi3ELin1ELin1ELin1ELi1ELi1ELi1EEEvN5torch10headeronly6detail27GenericPackedTensorAccessorINS7_14TensorAccessorINS3_8ArrayRefIlEEKT_Lm4ENS6_16DefaultPtrTraitsEiEENS_6detail16IndexBoundsCheckILm5EiEESD_Lm5ESE_iEENS8_INS9_ISB_SC_Lm4ESE_iEESI_SC_Lm5ESE_iEESJ_iiiiiiiii,"axG",@progbits,_ZN2at6native12_GLOBAL__N_143conv_depthwise3d_cuda_backward_input_kernelIN3c104HalfEfLi3ELi3ELi3ELin1ELin1ELin1ELi1ELi1ELi1EEEvN5torch10headeronly6detail27GenericPackedTensorAccessorINS7_14TensorAccessorINS3_8ArrayRefIlEEKT_Lm4ENS6_16DefaultPtrTraitsEiEENS_6detail16IndexBoundsCheckILm5EiEESD_Lm5ESE_iEENS8_INS9_ISB_SC_Lm4ESE_iEESI_SC_Lm5ESE_iEESJ_iiiiiiiii,comdat
	.globl	_ZN2at6native12_GLOBAL__N_143conv_depthwise3d_cuda_backward_input_kernelIN3c104HalfEfLi3ELi3ELi3ELin1ELin1ELin1ELi1ELi1ELi1EEEvN5torch10headeronly6detail27GenericPackedTensorAccessorINS7_14TensorAccessorINS3_8ArrayRefIlEEKT_Lm4ENS6_16DefaultPtrTraitsEiEENS_6detail16IndexBoundsCheckILm5EiEESD_Lm5ESE_iEENS8_INS9_ISB_SC_Lm4ESE_iEESI_SC_Lm5ESE_iEESJ_iiiiiiiii ; -- Begin function _ZN2at6native12_GLOBAL__N_143conv_depthwise3d_cuda_backward_input_kernelIN3c104HalfEfLi3ELi3ELi3ELin1ELin1ELin1ELi1ELi1ELi1EEEvN5torch10headeronly6detail27GenericPackedTensorAccessorINS7_14TensorAccessorINS3_8ArrayRefIlEEKT_Lm4ENS6_16DefaultPtrTraitsEiEENS_6detail16IndexBoundsCheckILm5EiEESD_Lm5ESE_iEENS8_INS9_ISB_SC_Lm4ESE_iEESI_SC_Lm5ESE_iEESJ_iiiiiiiii
	.p2align	8
	.type	_ZN2at6native12_GLOBAL__N_143conv_depthwise3d_cuda_backward_input_kernelIN3c104HalfEfLi3ELi3ELi3ELin1ELin1ELin1ELi1ELi1ELi1EEEvN5torch10headeronly6detail27GenericPackedTensorAccessorINS7_14TensorAccessorINS3_8ArrayRefIlEEKT_Lm4ENS6_16DefaultPtrTraitsEiEENS_6detail16IndexBoundsCheckILm5EiEESD_Lm5ESE_iEENS8_INS9_ISB_SC_Lm4ESE_iEESI_SC_Lm5ESE_iEESJ_iiiiiiiii,@function
_ZN2at6native12_GLOBAL__N_143conv_depthwise3d_cuda_backward_input_kernelIN3c104HalfEfLi3ELi3ELi3ELin1ELin1ELin1ELi1ELi1ELi1EEEvN5torch10headeronly6detail27GenericPackedTensorAccessorINS7_14TensorAccessorINS3_8ArrayRefIlEEKT_Lm4ENS6_16DefaultPtrTraitsEiEENS_6detail16IndexBoundsCheckILm5EiEESD_Lm5ESE_iEENS8_INS9_ISB_SC_Lm4ESE_iEESI_SC_Lm5ESE_iEESJ_iiiiiiiii: ; @_ZN2at6native12_GLOBAL__N_143conv_depthwise3d_cuda_backward_input_kernelIN3c104HalfEfLi3ELi3ELi3ELin1ELin1ELin1ELi1ELi1ELi1EEEvN5torch10headeronly6detail27GenericPackedTensorAccessorINS7_14TensorAccessorINS3_8ArrayRefIlEEKT_Lm4ENS6_16DefaultPtrTraitsEiEENS_6detail16IndexBoundsCheckILm5EiEESD_Lm5ESE_iEENS8_INS9_ISB_SC_Lm4ESE_iEESI_SC_Lm5ESE_iEESJ_iiiiiiiii
; %bb.0:
	s_mov_b64 s[82:83], s[2:3]
	s_mov_b64 s[80:81], s[0:1]
	s_clause 0x2
	s_load_dwordx4 s[8:11], s[4:5], 0x38
	s_load_dword s2, s[4:5], 0xc4
	s_load_dwordx2 s[24:25], s[4:5], 0x48
	s_add_u32 s80, s80, s7
	s_addc_u32 s81, s81, 0
	s_waitcnt lgkmcnt(0)
	s_abs_i32 s33, s9
	s_add_u32 s0, s4, 0xb8
	v_cvt_f32_u32_e32 v1, s33
	s_addc_u32 s1, s5, 0
	s_and_b32 s2, s2, 0xffff
	v_rcp_iflag_f32_e32 v2, v1
	v_mov_b32_e32 v1, 0
	v_mad_u64_u32 v[0:1], null, s2, s6, v[0:1]
	s_mul_i32 s6, s25, s8
	s_mov_b32 s8, exec_lo
	v_mul_f32_e32 v2, 0x4f7ffffe, v2
	s_ashr_i32 s7, s6, 31
	v_cvt_u32_f32_e32 v2, v2
	v_readfirstlane_b32 s3, v2
	v_cmpx_gt_i64_e64 s[6:7], v[0:1]
	s_cbranch_execz .LBB24_62
; %bb.1:
	s_clause 0x1
	s_load_dwordx4 s[12:15], s[4:5], 0xc
	s_load_dwordx2 s[26:27], s[4:5], 0x0
	s_sub_i32 s16, 0, s33
	s_load_dwordx2 s[28:29], s[4:5], 0xac
	s_load_dword s0, s[0:1], 0x0
	s_mul_i32 s8, s16, s3
	v_mul_lo_u32 v6, s16, v2
	s_mul_hi_u32 s8, s3, s8
	s_add_i32 s3, s3, s8
	s_ashr_i32 s8, s9, 31
	v_mul_hi_u32 v6, v2, v6
	s_waitcnt lgkmcnt(0)
	s_abs_i32 s17, s12
	s_ashr_i32 s12, s12, 31
	s_mul_hi_u32 s3, s17, s3
	s_xor_b32 s12, s12, s8
	s_mul_i32 s18, s3, s33
	v_add_nc_u32_e32 v2, v2, v6
	s_sub_i32 s17, s17, s18
	s_add_i32 s18, s3, 1
	s_sub_i32 s19, s17, s33
	s_cmp_ge_u32 s17, s33
	s_mul_i32 s43, s0, s2
	s_cselect_b32 s3, s18, s3
	s_cselect_b32 s17, s19, s17
	s_add_i32 s18, s3, 1
	s_cmp_ge_u32 s17, s33
	s_cselect_b32 s3, s18, s3
	s_clause 0x3
	s_load_dwordx4 s[16:19], s[4:5], 0x9c
	s_load_dword s42, s[4:5], 0x7c
	s_load_dwordx2 s[30:31], s[4:5], 0x1c
	s_load_dwordx2 s[34:35], s[4:5], 0x30
	s_xor_b32 s3, s3, s12
	s_sub_i32 s12, s3, s12
	s_cmp_gt_i32 s12, 0
	s_cselect_b32 s38, -1, 0
	s_abs_i32 s39, s24
	s_abs_i32 s40, s11
	;; [unrolled: 1-line block ×3, first 2 shown]
	v_cvt_f32_u32_e32 v3, s39
	v_cvt_f32_u32_e32 v4, s40
	;; [unrolled: 1-line block ×3, first 2 shown]
	s_sub_i32 s1, 0, s39
	s_sub_i32 s3, 0, s40
	v_rcp_iflag_f32_e32 v3, v3
	v_rcp_iflag_f32_e32 v4, v4
	;; [unrolled: 1-line block ×3, first 2 shown]
	s_sub_i32 s20, 0, s41
	s_lshl_b32 s44, s29, 1
	s_lshl_b32 s45, s28, 1
	s_waitcnt lgkmcnt(0)
	s_lshl_b32 s46, s19, 1
	s_ashr_i32 s47, s24, 31
	s_ashr_i32 s48, s11, 31
	;; [unrolled: 1-line block ×3, first 2 shown]
	v_mul_f32_e32 v3, 0x4f7ffffe, v3
	v_mul_f32_e32 v4, 0x4f7ffffe, v4
	;; [unrolled: 1-line block ×3, first 2 shown]
	s_mul_i32 s50, s31, s12
	v_cvt_u32_f32_e32 v3, v3
	v_cvt_u32_f32_e32 v4, v4
	;; [unrolled: 1-line block ×3, first 2 shown]
	v_mul_lo_u32 v7, s1, v3
	v_mul_lo_u32 v8, s3, v4
	;; [unrolled: 1-line block ×3, first 2 shown]
	s_clause 0x1
	s_load_dwordx2 s[36:37], s[4:5], 0x60
	s_load_dwordx4 s[20:23], s[4:5], 0x50
	buffer_store_dword v2, off, s[80:83], 0 ; 4-byte Folded Spill
	s_mov_b32 s5, 0
	v_mul_hi_u32 v2, v3, v7
	v_mul_hi_u32 v6, v4, v8
	;; [unrolled: 1-line block ×3, first 2 shown]
	v_add_nc_u32_e32 v2, v3, v2
	v_add_nc_u32_e32 v62, v4, v6
	;; [unrolled: 1-line block ×3, first 2 shown]
	buffer_store_dword v2, off, s[80:83], 0 offset:4 ; 4-byte Folded Spill
	s_branch .LBB24_4
.LBB24_2:                               ;   in Loop: Header=BB24_4 Depth=1
	s_or_b32 exec_lo, exec_lo, s0
	v_cvt_f16_f32_e32 v2, v73
.LBB24_3:                               ;   in Loop: Header=BB24_4 Depth=1
	v_mul_lo_u32 v3, v67, s25
	s_waitcnt lgkmcnt(0)
	v_mul_lo_u32 v5, s20, v68
	v_mul_lo_u32 v7, s21, v66
	;; [unrolled: 1-line block ×3, first 2 shown]
	v_add_co_u32 v0, vcc_lo, v0, s43
	v_add_co_ci_u32_e64 v1, null, 0, v1, vcc_lo
	v_ashrrev_i32_e32 v4, 31, v3
	v_ashrrev_i32_e32 v6, 31, v5
	;; [unrolled: 1-line block ×3, first 2 shown]
	v_mul_lo_u32 v11, s23, v64
	v_ashrrev_i32_e32 v10, 31, v9
	v_lshlrev_b64 v[3:4], 1, v[3:4]
	v_lshlrev_b64 v[5:6], 1, v[5:6]
	v_ashrrev_i32_e32 v12, 31, v11
	v_add_co_u32 v13, vcc_lo, s34, v3
	v_add_co_ci_u32_e64 v14, null, s35, v4, vcc_lo
	v_lshlrev_b64 v[3:4], 1, v[7:8]
	v_add_co_u32 v7, vcc_lo, v13, v5
	v_add_co_ci_u32_e64 v8, null, v14, v6, vcc_lo
	v_lshlrev_b64 v[5:6], 1, v[9:10]
	;; [unrolled: 3-line block ×3, first 2 shown]
	v_add_co_u32 v5, vcc_lo, v7, v5
	v_add_co_ci_u32_e64 v6, null, v8, v6, vcc_lo
	v_cmp_le_i64_e32 vcc_lo, s[6:7], v[0:1]
	v_add_co_u32 v3, s0, v5, v3
	v_add_co_ci_u32_e64 v4, null, v6, v4, s0
	s_or_b32 s5, vcc_lo, s5
	global_store_short v[3:4], v2, off
	s_andn2_b32 exec_lo, exec_lo, s5
	s_cbranch_execz .LBB24_62
.LBB24_4:                               ; =>This Loop Header: Depth=1
                                        ;     Child Loop BB24_7 Depth 2
	buffer_load_dword v3, off, s[80:83], 0 offset:4 ; 4-byte Folded Reload
	v_sub_nc_u32_e32 v2, 0, v0
	v_max_i32_e32 v2, v0, v2
	s_waitcnt vmcnt(0)
	v_mul_hi_u32 v3, v2, v3
	v_mul_lo_u32 v4, v3, s39
	v_sub_nc_u32_e32 v2, v2, v4
	v_add_nc_u32_e32 v4, 1, v3
	v_subrev_nc_u32_e32 v5, s39, v2
	v_cmp_le_u32_e32 vcc_lo, s39, v2
	v_cndmask_b32_e32 v3, v3, v4, vcc_lo
	v_cndmask_b32_e32 v2, v2, v5, vcc_lo
	v_ashrrev_i32_e32 v4, 31, v0
	v_add_nc_u32_e32 v5, 1, v3
	v_cmp_le_u32_e32 vcc_lo, s39, v2
	v_xor_b32_e32 v4, s47, v4
	v_cndmask_b32_e32 v2, v3, v5, vcc_lo
	v_xor_b32_e32 v2, v2, v4
	v_sub_nc_u32_e32 v2, v2, v4
	v_sub_nc_u32_e32 v3, 0, v2
	v_max_i32_e32 v3, v2, v3
	v_mul_hi_u32 v4, v3, v62
	v_mul_lo_u32 v5, v4, s40
	v_sub_nc_u32_e32 v3, v3, v5
	v_add_nc_u32_e32 v5, 1, v4
	v_subrev_nc_u32_e32 v6, s40, v3
	v_cmp_le_u32_e32 vcc_lo, s40, v3
	v_cndmask_b32_e32 v4, v4, v5, vcc_lo
	v_cndmask_b32_e32 v3, v3, v6, vcc_lo
	v_ashrrev_i32_e32 v5, 31, v2
	v_add_nc_u32_e32 v6, 1, v4
	v_cmp_le_u32_e32 vcc_lo, s40, v3
	v_xor_b32_e32 v5, s48, v5
	v_cndmask_b32_e32 v3, v4, v6, vcc_lo
	v_xor_b32_e32 v3, v3, v5
	v_sub_nc_u32_e32 v3, v3, v5
	v_sub_nc_u32_e32 v4, 0, v3
	v_max_i32_e32 v4, v3, v4
	v_mul_hi_u32 v5, v4, v63
	v_mul_lo_u32 v6, v5, s41
	v_sub_nc_u32_e32 v4, v4, v6
	v_add_nc_u32_e32 v6, 1, v5
	v_subrev_nc_u32_e32 v7, s41, v4
	v_cmp_le_u32_e32 vcc_lo, s41, v4
	v_cndmask_b32_e32 v5, v5, v6, vcc_lo
	v_cndmask_b32_e32 v4, v4, v7, vcc_lo
	v_ashrrev_i32_e32 v6, 31, v3
	v_add_nc_u32_e32 v7, 1, v5
	v_cmp_le_u32_e32 vcc_lo, s41, v4
	v_xor_b32_e32 v6, s49, v6
	v_cndmask_b32_e32 v4, v5, v7, vcc_lo
	v_xor_b32_e32 v4, v4, v6
	v_sub_nc_u32_e32 v4, v4, v6
	buffer_load_dword v6, off, s[80:83], 0  ; 4-byte Folded Reload
	v_sub_nc_u32_e32 v5, 0, v4
	v_max_i32_e32 v5, v4, v5
	s_waitcnt vmcnt(0)
	v_mul_hi_u32 v6, v5, v6
	v_mul_lo_u32 v7, v6, s33
	v_sub_nc_u32_e32 v5, v5, v7
	v_add_nc_u32_e32 v7, 1, v6
	v_subrev_nc_u32_e32 v8, s33, v5
	v_cmp_le_u32_e32 vcc_lo, s33, v5
	v_cndmask_b32_e32 v6, v6, v7, vcc_lo
	v_cndmask_b32_e32 v5, v5, v8, vcc_lo
	v_ashrrev_i32_e32 v7, 31, v4
	v_add_nc_u32_e32 v8, 1, v6
	v_cmp_le_u32_e32 vcc_lo, s33, v5
	v_xor_b32_e32 v7, s8, v7
	v_cndmask_b32_e32 v5, v6, v8, vcc_lo
	v_mul_lo_u32 v6, v3, s11
	s_andn2_b32 vcc_lo, exec_lo, s38
	v_xor_b32_e32 v5, v5, v7
	v_sub_nc_u32_e32 v65, v2, v6
	v_sub_nc_u32_e32 v67, v5, v7
	v_mul_lo_u32 v5, v2, s24
	v_mul_lo_u32 v7, v4, s10
	;; [unrolled: 1-line block ×3, first 2 shown]
	v_sub_nc_u32_e32 v64, v0, v5
	v_sub_nc_u32_e32 v66, v3, v7
	;; [unrolled: 1-line block ×3, first 2 shown]
	s_cbranch_vccnz .LBB24_61
; %bb.5:                                ;   in Loop: Header=BB24_4 Depth=1
	v_mul_lo_u32 v69, v68, s12
	v_mul_lo_u32 v2, s30, v67
	v_add_nc_u32_e32 v27, s16, v66
	v_add_nc_u32_e32 v23, s17, v65
	;; [unrolled: 1-line block ×3, first 2 shown]
	v_mul_lo_u32 v14, v27, s14
	v_mul_lo_u32 v4, s42, v69
	v_ashrrev_i32_e32 v3, 31, v2
	v_or_b32_e32 v6, v18, v23
	v_subrev_nc_u32_e32 v19, s29, v18
	v_cmp_gt_i32_e64 s0, s14, v23
	v_subrev_nc_u32_e32 v24, s46, v27
	v_lshlrev_b64 v[2:3], 1, v[2:3]
	v_add_nc_u32_e32 v7, v23, v14
	v_ashrrev_i32_e32 v5, 31, v4
	v_subrev_nc_u32_e32 v30, s19, v27
	v_cmp_gt_i32_e32 vcc_lo, s13, v27
	v_subrev_nc_u32_e32 v21, s44, v18
	v_add_co_u32 v70, s1, s26, v2
	v_lshlrev_b64 v[4:5], 1, v[4:5]
	v_add_co_ci_u32_e64 v71, null, s27, v3, s1
	v_mul_lo_u32 v8, v7, s15
	v_or_b32_e32 v7, v19, v23
	v_or_b32_e32 v25, v6, v24
	s_waitcnt lgkmcnt(0)
	v_add_co_u32 v2, s1, s36, v4
	v_or_b32_e32 v4, v6, v27
	v_add_co_ci_u32_e64 v3, null, s37, v5, s1
	v_cmp_gt_i32_e64 s1, s15, v18
	v_or_b32_e32 v29, v6, v30
	v_cmp_lt_i32_e64 s2, -1, v4
	v_or_b32_e32 v6, v7, v27
	v_or_b32_e32 v9, v21, v23
	s_and_b32 s69, s1, s0
	v_subrev_nc_u32_e32 v22, s28, v23
	s_and_b32 s2, s69, s2
	v_cmp_lt_i32_e64 s3, -1, v6
	s_and_b32 s51, s2, vcc_lo
	v_cmp_gt_i32_e64 s2, s15, v19
	v_or_b32_e32 v10, v9, v27
	v_or_b32_e32 v11, v18, v22
	;; [unrolled: 1-line block ×3, first 2 shown]
	v_add_nc_u32_e32 v12, v22, v14
	s_and_b32 s70, s2, s0
	v_cmp_lt_i32_e64 s4, -1, v10
	s_and_b32 s3, s70, s3
	v_or_b32_e32 v10, v11, v27
	s_and_b32 s52, s3, vcc_lo
	v_cmp_gt_i32_e64 s3, s15, v21
	v_mul_lo_u32 v16, v12, s15
	v_or_b32_e32 v12, v13, v27
	v_or_b32_e32 v15, v21, v22
	v_subrev_nc_u32_e32 v20, s45, v23
	s_and_b32 s71, s3, s0
	v_cmp_gt_i32_e64 s0, s14, v22
	s_and_b32 s4, s71, s4
	v_or_b32_e32 v35, v15, v27
	s_and_b32 s53, s4, vcc_lo
	v_cmp_lt_i32_e64 s4, -1, v10
	s_and_b32 s72, s1, s0
	s_and_b32 s73, s2, s0
	v_or_b32_e32 v17, v18, v20
	v_add_nc_u32_e32 v10, v18, v16
	s_and_b32 s4, s72, s4
	s_and_b32 s74, s3, s0
	s_and_b32 s54, s4, vcc_lo
	v_cmp_lt_i32_e64 s4, -1, v12
	v_add_nc_u32_e32 v12, v19, v16
	v_or_b32_e32 v28, v19, v20
	v_cmp_gt_i32_e64 s0, s14, v20
	v_or_b32_e32 v31, v21, v20
	s_and_b32 s4, s73, s4
	v_or_b32_e32 v32, v7, v30
	s_and_b32 s55, s4, vcc_lo
	v_cmp_lt_i32_e64 s4, -1, v35
	v_add_nc_u32_e32 v35, v20, v14
	v_add_nc_u32_e32 v14, v21, v16
	v_or_b32_e32 v16, v17, v27
	v_or_b32_e32 v36, v28, v27
	s_and_b32 s4, s74, s4
	s_and_b32 s75, s1, s0
	s_and_b32 s56, s4, vcc_lo
	v_cmp_lt_i32_e64 s4, -1, v16
	s_and_b32 s76, s2, s0
	s_and_b32 s77, s3, s0
	v_cmp_lt_i32_e64 s0, -1, v29
	v_or_b32_e32 v33, v9, v30
	s_and_b32 s1, s75, s4
	v_or_b32_e32 v34, v11, v30
	s_and_b32 s57, s1, vcc_lo
	v_cmp_lt_i32_e64 s1, -1, v36
	v_or_b32_e32 v36, v31, v27
	v_or_b32_e32 v38, v13, v30
	;; [unrolled: 1-line block ×3, first 2 shown]
	v_mul_lo_u32 v35, v35, s15
	s_and_b32 s1, s76, s1
	v_or_b32_e32 v42, v17, v30
	s_and_b32 s58, s1, vcc_lo
	v_cmp_lt_i32_e64 s1, -1, v36
	v_mul_lo_u32 v40, v30, s14
	v_mul_lo_u32 v53, v24, s14
	v_or_b32_e32 v43, v28, v30
	v_or_b32_e32 v44, v31, v30
	s_and_b32 s1, s77, s1
	v_or_b32_e32 v26, v7, v24
	s_and_b32 s59, s1, vcc_lo
	v_cmp_gt_i32_e32 vcc_lo, s13, v30
	s_and_b32 s1, s69, s0
	v_cmp_lt_i32_e64 s0, -1, v32
	v_cmp_lt_i32_e64 s2, -1, v44
	v_add_nc_u32_e32 v16, v18, v35
	s_and_b32 s60, s1, vcc_lo
	v_add_nc_u32_e32 v27, v19, v35
	s_and_b32 s1, s70, s0
	v_cmp_lt_i32_e64 s0, -1, v33
	s_and_b32 s61, s1, vcc_lo
	v_cmp_lt_i32_e64 s1, -1, v34
	v_add_nc_u32_e32 v37, v23, v40
	v_add_nc_u32_e32 v29, v21, v35
	s_and_b32 s0, s71, s0
	v_add_nc_u32_e32 v35, v22, v40
	s_and_b32 s62, s0, vcc_lo
	s_and_b32 s0, s72, s1
	v_cmp_lt_i32_e64 s1, -1, v39
	s_and_b32 s63, s0, vcc_lo
	v_cmp_lt_i32_e64 s0, -1, v38
	v_add_nc_u32_e32 v40, v20, v40
	v_add_nc_u32_e32 v22, v22, v53
	v_or_b32_e32 v49, v9, v24
	v_add_nc_u32_e32 v23, v23, v53
	s_and_b32 s0, s73, s0
	v_add_nc_u32_e32 v20, v20, v53
	s_and_b32 s64, s0, vcc_lo
	s_and_b32 s0, s74, s1
	v_cmp_lt_i32_e64 s1, -1, v43
	s_and_b32 s65, s0, vcc_lo
	v_cmp_lt_i32_e64 s0, -1, v42
	s_and_b32 s3, s77, s2
	v_cmp_lt_i32_e64 s2, -1, v26
	v_mul_lo_u32 v36, v37, s15
	v_mul_lo_u32 v41, v35, s15
	s_and_b32 s0, s75, s0
	v_mul_lo_u32 v46, v40, s15
	s_and_b32 s66, s0, vcc_lo
	s_and_b32 s0, s76, s1
	v_cmp_lt_i32_e64 s1, -1, v25
	v_mul_lo_u32 v22, v22, s15
	v_or_b32_e32 v50, v11, v24
	s_and_b32 s67, s0, vcc_lo
	v_cmp_gt_i32_e64 s0, s13, v24
	s_and_b32 s68, s3, vcc_lo
	v_cmp_lt_i32_e32 vcc_lo, -1, v49
	v_mul_lo_u32 v23, v23, s15
	v_mul_lo_u32 v20, v20, s15
	v_or_b32_e32 v51, v13, v24
	v_or_b32_e32 v55, v28, v24
	s_and_b32 s1, s69, s1
	s_and_b32 s4, s70, s2
	;; [unrolled: 1-line block ×3, first 2 shown]
	v_cmp_lt_i32_e64 s1, -1, v50
	s_and_b32 s70, s4, s0
	s_and_b32 s4, s71, vcc_lo
	v_or_b32_e32 v58, v31, v24
	v_add_nc_u32_e32 v31, v18, v36
	v_add_nc_u32_e32 v35, v21, v36
	;; [unrolled: 1-line block ×6, first 2 shown]
	v_cmp_lt_i32_e64 s2, -1, v51
	s_and_b32 s71, s4, s0
	v_cmp_lt_i32_e64 s4, -1, v55
	v_add_nc_u32_e32 v55, v18, v22
	v_add_nc_u32_e32 v4, v18, v8
	;; [unrolled: 1-line block ×4, first 2 shown]
	v_or_b32_e32 v52, v15, v24
	v_or_b32_e32 v54, v17, v24
	v_add_nc_u32_e32 v33, v19, v36
	v_add_nc_u32_e32 v41, v21, v41
	;; [unrolled: 1-line block ×11, first 2 shown]
	s_and_b32 s1, s72, s1
	v_ashrrev_i32_e32 v28, 31, v27
	v_ashrrev_i32_e32 v30, 31, v29
	;; [unrolled: 1-line block ×8, first 2 shown]
	s_and_b32 s72, s1, s0
	s_and_b32 s1, s73, s2
	v_ashrrev_i32_e32 v56, 31, v55
	v_ashrrev_i32_e32 v5, 31, v4
	;; [unrolled: 1-line block ×11, first 2 shown]
	v_cmp_lt_i32_e64 s3, -1, v52
	v_ashrrev_i32_e32 v50, 31, v49
	v_ashrrev_i32_e32 v52, 31, v51
	v_cmp_lt_i32_e32 vcc_lo, -1, v54
	v_ashrrev_i32_e32 v54, 31, v53
	s_and_b32 s2, s1, s0
	v_cmp_lt_i32_e64 s1, -1, v58
	v_ashrrev_i32_e32 v58, 31, v57
	v_ashrrev_i32_e32 v60, 31, v59
	;; [unrolled: 1-line block ×5, first 2 shown]
	v_lshlrev_b64 v[18:19], 1, v[27:28]
	v_lshlrev_b64 v[20:21], 1, v[29:30]
	;; [unrolled: 1-line block ×9, first 2 shown]
	v_mul_lo_u32 v56, s50, v68
	v_lshlrev_b64 v[4:5], 1, v[4:5]
	v_lshlrev_b64 v[6:7], 1, v[6:7]
	;; [unrolled: 1-line block ×18, first 2 shown]
	v_add_nc_u32_e32 v72, s12, v69
	v_mov_b32_e32 v73, 0
	s_and_b32 s3, s74, s3
	s_and_b32 s73, s75, vcc_lo
	s_and_b32 s4, s76, s4
	s_and_b32 s74, s77, s1
	s_and_b32 s3, s3, s0
	s_and_b32 s73, s73, s0
	s_and_b32 s1, s4, s0
	s_and_b32 s4, s74, s0
	s_mov_b32 s0, 0
	s_branch .LBB24_7
.LBB24_6:                               ;   in Loop: Header=BB24_7 Depth=2
	s_or_b32 exec_lo, exec_lo, s74
	s_waitcnt vmcnt(26)
	v_fma_mix_f32 v57, v57, v74, v73 op_sel_hi:[0,1,0]
	v_add_nc_u32_e32 v69, 1, v69
	v_add_co_u32 v2, vcc_lo, v2, 54
	v_add_co_ci_u32_e64 v3, null, 0, v3, vcc_lo
	s_waitcnt vmcnt(25)
	v_fma_mix_f32 v57, v79, v77, v57 op_sel_hi:[0,1,0]
	v_cmp_ge_i32_e32 vcc_lo, v69, v72
	v_add_nc_u32_e32 v56, s31, v56
	s_waitcnt vmcnt(24)
	v_fma_mix_f32 v57, v78, v80, v57 op_sel_hi:[0,1,0]
	s_or_b32 s0, vcc_lo, s0
	s_waitcnt vmcnt(23)
	v_fma_mix_f32 v57, v83, v81, v57 op_sel_hi:[0,1,0]
	s_waitcnt vmcnt(22)
	v_fma_mix_f32 v57, v82, v84, v57 op_sel_hi:[0,1,0]
	;; [unrolled: 2-line block ×24, first 2 shown]
	s_andn2_b32 exec_lo, exec_lo, s0
	s_cbranch_execz .LBB24_2
.LBB24_7:                               ;   Parent Loop BB24_4 Depth=1
                                        ; =>  This Inner Loop Header: Depth=2
	global_load_ushort v74, v[2:3], off
	v_ashrrev_i32_e32 v57, 31, v56
	v_lshlrev_b64 v[75:76], 1, v[56:57]
	v_mov_b32_e32 v57, 0
	v_add_co_u32 v75, vcc_lo, v70, v75
	v_add_co_ci_u32_e64 v76, null, v71, v76, vcc_lo
	s_and_saveexec_b32 s74, s51
	s_cbranch_execz .LBB24_9
; %bb.8:                                ;   in Loop: Header=BB24_7 Depth=2
	v_add_co_u32 v77, vcc_lo, v75, v4
	v_add_co_ci_u32_e64 v78, null, v76, v5, vcc_lo
	global_load_ushort v57, v[77:78], off
	s_waitcnt vmcnt(0)
	v_cvt_f32_f16_e32 v57, v57
.LBB24_9:                               ;   in Loop: Header=BB24_7 Depth=2
	s_or_b32 exec_lo, exec_lo, s74
	global_load_ushort v77, v[2:3], off offset:2
	v_mov_b32_e32 v78, 0
	v_mov_b32_e32 v79, 0
	s_and_saveexec_b32 s74, s52
	s_cbranch_execz .LBB24_11
; %bb.10:                               ;   in Loop: Header=BB24_7 Depth=2
	v_add_co_u32 v79, vcc_lo, v75, v6
	v_add_co_ci_u32_e64 v80, null, v76, v7, vcc_lo
	global_load_ushort v60, v[79:80], off
	s_waitcnt vmcnt(0)
	v_cvt_f32_f16_e32 v79, v60
.LBB24_11:                              ;   in Loop: Header=BB24_7 Depth=2
	s_or_b32 exec_lo, exec_lo, s74
	global_load_ushort v80, v[2:3], off offset:4
	s_and_saveexec_b32 s74, s53
	s_cbranch_execz .LBB24_13
; %bb.12:                               ;   in Loop: Header=BB24_7 Depth=2
	v_add_co_u32 v81, vcc_lo, v75, v8
	v_add_co_ci_u32_e64 v82, null, v76, v9, vcc_lo
	global_load_ushort v60, v[81:82], off
	s_waitcnt vmcnt(0)
	v_cvt_f32_f16_e32 v78, v60
.LBB24_13:                              ;   in Loop: Header=BB24_7 Depth=2
	s_or_b32 exec_lo, exec_lo, s74
	global_load_ushort v81, v[2:3], off offset:6
	v_mov_b32_e32 v82, 0
	v_mov_b32_e32 v83, 0
	s_and_saveexec_b32 s74, s54
	s_cbranch_execz .LBB24_15
; %bb.14:                               ;   in Loop: Header=BB24_7 Depth=2
	v_add_co_u32 v83, vcc_lo, v75, v10
	v_add_co_ci_u32_e64 v84, null, v76, v11, vcc_lo
	global_load_ushort v60, v[83:84], off
	s_waitcnt vmcnt(0)
	v_cvt_f32_f16_e32 v83, v60
.LBB24_15:                              ;   in Loop: Header=BB24_7 Depth=2
	s_or_b32 exec_lo, exec_lo, s74
	global_load_ushort v84, v[2:3], off offset:8
	s_and_saveexec_b32 s74, s55
	s_cbranch_execz .LBB24_17
; %bb.16:                               ;   in Loop: Header=BB24_7 Depth=2
	v_add_co_u32 v85, vcc_lo, v75, v12
	v_add_co_ci_u32_e64 v86, null, v76, v13, vcc_lo
	global_load_ushort v60, v[85:86], off
	s_waitcnt vmcnt(0)
	v_cvt_f32_f16_e32 v82, v60
.LBB24_17:                              ;   in Loop: Header=BB24_7 Depth=2
	;; [unrolled: 24-line block ×12, first 2 shown]
	s_or_b32 exec_lo, exec_lo, s74
	global_load_ushort v125, v[2:3], off offset:50
	v_mov_b32_e32 v126, 0
	v_mov_b32_e32 v127, 0
	s_and_saveexec_b32 s74, s1
	s_cbranch_execz .LBB24_59
; %bb.58:                               ;   in Loop: Header=BB24_7 Depth=2
	v_add_co_u32 v60, vcc_lo, v75, v54
	v_add_co_ci_u32_e64 v61, null, v76, v55, vcc_lo
	global_load_ushort v60, v[60:61], off
	s_waitcnt vmcnt(0)
	v_cvt_f32_f16_e32 v127, v60
.LBB24_59:                              ;   in Loop: Header=BB24_7 Depth=2
	s_or_b32 exec_lo, exec_lo, s74
	global_load_ushort v60, v[2:3], off offset:52
	s_and_saveexec_b32 s74, s4
	s_cbranch_execz .LBB24_6
; %bb.60:                               ;   in Loop: Header=BB24_7 Depth=2
	v_add_co_u32 v75, vcc_lo, v75, v58
	v_add_co_ci_u32_e64 v76, null, v76, v59, vcc_lo
	global_load_ushort v61, v[75:76], off
	s_waitcnt vmcnt(0)
	v_cvt_f32_f16_e32 v126, v61
	s_branch .LBB24_6
.LBB24_61:                              ;   in Loop: Header=BB24_4 Depth=1
	v_mov_b32_e32 v2, 0
	s_branch .LBB24_3
.LBB24_62:
	s_endpgm
	.section	.rodata,"a",@progbits
	.p2align	6, 0x0
	.amdhsa_kernel _ZN2at6native12_GLOBAL__N_143conv_depthwise3d_cuda_backward_input_kernelIN3c104HalfEfLi3ELi3ELi3ELin1ELin1ELin1ELi1ELi1ELi1EEEvN5torch10headeronly6detail27GenericPackedTensorAccessorINS7_14TensorAccessorINS3_8ArrayRefIlEEKT_Lm4ENS6_16DefaultPtrTraitsEiEENS_6detail16IndexBoundsCheckILm5EiEESD_Lm5ESE_iEENS8_INS9_ISB_SC_Lm4ESE_iEESI_SC_Lm5ESE_iEESJ_iiiiiiiii
		.amdhsa_group_segment_fixed_size 0
		.amdhsa_private_segment_fixed_size 12
		.amdhsa_kernarg_size 440
		.amdhsa_user_sgpr_count 6
		.amdhsa_user_sgpr_private_segment_buffer 1
		.amdhsa_user_sgpr_dispatch_ptr 0
		.amdhsa_user_sgpr_queue_ptr 0
		.amdhsa_user_sgpr_kernarg_segment_ptr 1
		.amdhsa_user_sgpr_dispatch_id 0
		.amdhsa_user_sgpr_flat_scratch_init 0
		.amdhsa_user_sgpr_private_segment_size 0
		.amdhsa_wavefront_size32 1
		.amdhsa_uses_dynamic_stack 0
		.amdhsa_system_sgpr_private_segment_wavefront_offset 1
		.amdhsa_system_sgpr_workgroup_id_x 1
		.amdhsa_system_sgpr_workgroup_id_y 0
		.amdhsa_system_sgpr_workgroup_id_z 0
		.amdhsa_system_sgpr_workgroup_info 0
		.amdhsa_system_vgpr_workitem_id 0
		.amdhsa_next_free_vgpr 128
		.amdhsa_next_free_sgpr 84
		.amdhsa_reserve_vcc 1
		.amdhsa_reserve_flat_scratch 0
		.amdhsa_float_round_mode_32 0
		.amdhsa_float_round_mode_16_64 0
		.amdhsa_float_denorm_mode_32 3
		.amdhsa_float_denorm_mode_16_64 3
		.amdhsa_dx10_clamp 1
		.amdhsa_ieee_mode 1
		.amdhsa_fp16_overflow 0
		.amdhsa_workgroup_processor_mode 1
		.amdhsa_memory_ordered 1
		.amdhsa_forward_progress 1
		.amdhsa_shared_vgpr_count 0
		.amdhsa_exception_fp_ieee_invalid_op 0
		.amdhsa_exception_fp_denorm_src 0
		.amdhsa_exception_fp_ieee_div_zero 0
		.amdhsa_exception_fp_ieee_overflow 0
		.amdhsa_exception_fp_ieee_underflow 0
		.amdhsa_exception_fp_ieee_inexact 0
		.amdhsa_exception_int_div_zero 0
	.end_amdhsa_kernel
	.section	.text._ZN2at6native12_GLOBAL__N_143conv_depthwise3d_cuda_backward_input_kernelIN3c104HalfEfLi3ELi3ELi3ELin1ELin1ELin1ELi1ELi1ELi1EEEvN5torch10headeronly6detail27GenericPackedTensorAccessorINS7_14TensorAccessorINS3_8ArrayRefIlEEKT_Lm4ENS6_16DefaultPtrTraitsEiEENS_6detail16IndexBoundsCheckILm5EiEESD_Lm5ESE_iEENS8_INS9_ISB_SC_Lm4ESE_iEESI_SC_Lm5ESE_iEESJ_iiiiiiiii,"axG",@progbits,_ZN2at6native12_GLOBAL__N_143conv_depthwise3d_cuda_backward_input_kernelIN3c104HalfEfLi3ELi3ELi3ELin1ELin1ELin1ELi1ELi1ELi1EEEvN5torch10headeronly6detail27GenericPackedTensorAccessorINS7_14TensorAccessorINS3_8ArrayRefIlEEKT_Lm4ENS6_16DefaultPtrTraitsEiEENS_6detail16IndexBoundsCheckILm5EiEESD_Lm5ESE_iEENS8_INS9_ISB_SC_Lm4ESE_iEESI_SC_Lm5ESE_iEESJ_iiiiiiiii,comdat
.Lfunc_end24:
	.size	_ZN2at6native12_GLOBAL__N_143conv_depthwise3d_cuda_backward_input_kernelIN3c104HalfEfLi3ELi3ELi3ELin1ELin1ELin1ELi1ELi1ELi1EEEvN5torch10headeronly6detail27GenericPackedTensorAccessorINS7_14TensorAccessorINS3_8ArrayRefIlEEKT_Lm4ENS6_16DefaultPtrTraitsEiEENS_6detail16IndexBoundsCheckILm5EiEESD_Lm5ESE_iEENS8_INS9_ISB_SC_Lm4ESE_iEESI_SC_Lm5ESE_iEESJ_iiiiiiiii, .Lfunc_end24-_ZN2at6native12_GLOBAL__N_143conv_depthwise3d_cuda_backward_input_kernelIN3c104HalfEfLi3ELi3ELi3ELin1ELin1ELin1ELi1ELi1ELi1EEEvN5torch10headeronly6detail27GenericPackedTensorAccessorINS7_14TensorAccessorINS3_8ArrayRefIlEEKT_Lm4ENS6_16DefaultPtrTraitsEiEENS_6detail16IndexBoundsCheckILm5EiEESD_Lm5ESE_iEENS8_INS9_ISB_SC_Lm4ESE_iEESI_SC_Lm5ESE_iEESJ_iiiiiiiii
                                        ; -- End function
	.set _ZN2at6native12_GLOBAL__N_143conv_depthwise3d_cuda_backward_input_kernelIN3c104HalfEfLi3ELi3ELi3ELin1ELin1ELin1ELi1ELi1ELi1EEEvN5torch10headeronly6detail27GenericPackedTensorAccessorINS7_14TensorAccessorINS3_8ArrayRefIlEEKT_Lm4ENS6_16DefaultPtrTraitsEiEENS_6detail16IndexBoundsCheckILm5EiEESD_Lm5ESE_iEENS8_INS9_ISB_SC_Lm4ESE_iEESI_SC_Lm5ESE_iEESJ_iiiiiiiii.num_vgpr, 128
	.set _ZN2at6native12_GLOBAL__N_143conv_depthwise3d_cuda_backward_input_kernelIN3c104HalfEfLi3ELi3ELi3ELin1ELin1ELin1ELi1ELi1ELi1EEEvN5torch10headeronly6detail27GenericPackedTensorAccessorINS7_14TensorAccessorINS3_8ArrayRefIlEEKT_Lm4ENS6_16DefaultPtrTraitsEiEENS_6detail16IndexBoundsCheckILm5EiEESD_Lm5ESE_iEENS8_INS9_ISB_SC_Lm4ESE_iEESI_SC_Lm5ESE_iEESJ_iiiiiiiii.num_agpr, 0
	.set _ZN2at6native12_GLOBAL__N_143conv_depthwise3d_cuda_backward_input_kernelIN3c104HalfEfLi3ELi3ELi3ELin1ELin1ELin1ELi1ELi1ELi1EEEvN5torch10headeronly6detail27GenericPackedTensorAccessorINS7_14TensorAccessorINS3_8ArrayRefIlEEKT_Lm4ENS6_16DefaultPtrTraitsEiEENS_6detail16IndexBoundsCheckILm5EiEESD_Lm5ESE_iEENS8_INS9_ISB_SC_Lm4ESE_iEESI_SC_Lm5ESE_iEESJ_iiiiiiiii.numbered_sgpr, 84
	.set _ZN2at6native12_GLOBAL__N_143conv_depthwise3d_cuda_backward_input_kernelIN3c104HalfEfLi3ELi3ELi3ELin1ELin1ELin1ELi1ELi1ELi1EEEvN5torch10headeronly6detail27GenericPackedTensorAccessorINS7_14TensorAccessorINS3_8ArrayRefIlEEKT_Lm4ENS6_16DefaultPtrTraitsEiEENS_6detail16IndexBoundsCheckILm5EiEESD_Lm5ESE_iEENS8_INS9_ISB_SC_Lm4ESE_iEESI_SC_Lm5ESE_iEESJ_iiiiiiiii.num_named_barrier, 0
	.set _ZN2at6native12_GLOBAL__N_143conv_depthwise3d_cuda_backward_input_kernelIN3c104HalfEfLi3ELi3ELi3ELin1ELin1ELin1ELi1ELi1ELi1EEEvN5torch10headeronly6detail27GenericPackedTensorAccessorINS7_14TensorAccessorINS3_8ArrayRefIlEEKT_Lm4ENS6_16DefaultPtrTraitsEiEENS_6detail16IndexBoundsCheckILm5EiEESD_Lm5ESE_iEENS8_INS9_ISB_SC_Lm4ESE_iEESI_SC_Lm5ESE_iEESJ_iiiiiiiii.private_seg_size, 12
	.set _ZN2at6native12_GLOBAL__N_143conv_depthwise3d_cuda_backward_input_kernelIN3c104HalfEfLi3ELi3ELi3ELin1ELin1ELin1ELi1ELi1ELi1EEEvN5torch10headeronly6detail27GenericPackedTensorAccessorINS7_14TensorAccessorINS3_8ArrayRefIlEEKT_Lm4ENS6_16DefaultPtrTraitsEiEENS_6detail16IndexBoundsCheckILm5EiEESD_Lm5ESE_iEENS8_INS9_ISB_SC_Lm4ESE_iEESI_SC_Lm5ESE_iEESJ_iiiiiiiii.uses_vcc, 1
	.set _ZN2at6native12_GLOBAL__N_143conv_depthwise3d_cuda_backward_input_kernelIN3c104HalfEfLi3ELi3ELi3ELin1ELin1ELin1ELi1ELi1ELi1EEEvN5torch10headeronly6detail27GenericPackedTensorAccessorINS7_14TensorAccessorINS3_8ArrayRefIlEEKT_Lm4ENS6_16DefaultPtrTraitsEiEENS_6detail16IndexBoundsCheckILm5EiEESD_Lm5ESE_iEENS8_INS9_ISB_SC_Lm4ESE_iEESI_SC_Lm5ESE_iEESJ_iiiiiiiii.uses_flat_scratch, 0
	.set _ZN2at6native12_GLOBAL__N_143conv_depthwise3d_cuda_backward_input_kernelIN3c104HalfEfLi3ELi3ELi3ELin1ELin1ELin1ELi1ELi1ELi1EEEvN5torch10headeronly6detail27GenericPackedTensorAccessorINS7_14TensorAccessorINS3_8ArrayRefIlEEKT_Lm4ENS6_16DefaultPtrTraitsEiEENS_6detail16IndexBoundsCheckILm5EiEESD_Lm5ESE_iEENS8_INS9_ISB_SC_Lm4ESE_iEESI_SC_Lm5ESE_iEESJ_iiiiiiiii.has_dyn_sized_stack, 0
	.set _ZN2at6native12_GLOBAL__N_143conv_depthwise3d_cuda_backward_input_kernelIN3c104HalfEfLi3ELi3ELi3ELin1ELin1ELin1ELi1ELi1ELi1EEEvN5torch10headeronly6detail27GenericPackedTensorAccessorINS7_14TensorAccessorINS3_8ArrayRefIlEEKT_Lm4ENS6_16DefaultPtrTraitsEiEENS_6detail16IndexBoundsCheckILm5EiEESD_Lm5ESE_iEENS8_INS9_ISB_SC_Lm4ESE_iEESI_SC_Lm5ESE_iEESJ_iiiiiiiii.has_recursion, 0
	.set _ZN2at6native12_GLOBAL__N_143conv_depthwise3d_cuda_backward_input_kernelIN3c104HalfEfLi3ELi3ELi3ELin1ELin1ELin1ELi1ELi1ELi1EEEvN5torch10headeronly6detail27GenericPackedTensorAccessorINS7_14TensorAccessorINS3_8ArrayRefIlEEKT_Lm4ENS6_16DefaultPtrTraitsEiEENS_6detail16IndexBoundsCheckILm5EiEESD_Lm5ESE_iEENS8_INS9_ISB_SC_Lm4ESE_iEESI_SC_Lm5ESE_iEESJ_iiiiiiiii.has_indirect_call, 0
	.section	.AMDGPU.csdata,"",@progbits
; Kernel info:
; codeLenInByte = 4456
; TotalNumSgprs: 86
; NumVgprs: 128
; ScratchSize: 12
; MemoryBound: 0
; FloatMode: 240
; IeeeMode: 1
; LDSByteSize: 0 bytes/workgroup (compile time only)
; SGPRBlocks: 0
; VGPRBlocks: 15
; NumSGPRsForWavesPerEU: 86
; NumVGPRsForWavesPerEU: 128
; Occupancy: 8
; WaveLimiterHint : 0
; COMPUTE_PGM_RSRC2:SCRATCH_EN: 1
; COMPUTE_PGM_RSRC2:USER_SGPR: 6
; COMPUTE_PGM_RSRC2:TRAP_HANDLER: 0
; COMPUTE_PGM_RSRC2:TGID_X_EN: 1
; COMPUTE_PGM_RSRC2:TGID_Y_EN: 0
; COMPUTE_PGM_RSRC2:TGID_Z_EN: 0
; COMPUTE_PGM_RSRC2:TIDIG_COMP_CNT: 0
	.section	.text._ZN2at6native12_GLOBAL__N_143conv_depthwise3d_cuda_backward_input_kernelIN3c104HalfEfLi3ELi3ELi3ELin1ELin1ELin1ELin1ELin1ELin1EEEvN5torch10headeronly6detail27GenericPackedTensorAccessorINS7_14TensorAccessorINS3_8ArrayRefIlEEKT_Lm4ENS6_16DefaultPtrTraitsEiEENS_6detail16IndexBoundsCheckILm5EiEESD_Lm5ESE_iEENS8_INS9_ISB_SC_Lm4ESE_iEESI_SC_Lm5ESE_iEESJ_iiiiiiiii,"axG",@progbits,_ZN2at6native12_GLOBAL__N_143conv_depthwise3d_cuda_backward_input_kernelIN3c104HalfEfLi3ELi3ELi3ELin1ELin1ELin1ELin1ELin1ELin1EEEvN5torch10headeronly6detail27GenericPackedTensorAccessorINS7_14TensorAccessorINS3_8ArrayRefIlEEKT_Lm4ENS6_16DefaultPtrTraitsEiEENS_6detail16IndexBoundsCheckILm5EiEESD_Lm5ESE_iEENS8_INS9_ISB_SC_Lm4ESE_iEESI_SC_Lm5ESE_iEESJ_iiiiiiiii,comdat
	.globl	_ZN2at6native12_GLOBAL__N_143conv_depthwise3d_cuda_backward_input_kernelIN3c104HalfEfLi3ELi3ELi3ELin1ELin1ELin1ELin1ELin1ELin1EEEvN5torch10headeronly6detail27GenericPackedTensorAccessorINS7_14TensorAccessorINS3_8ArrayRefIlEEKT_Lm4ENS6_16DefaultPtrTraitsEiEENS_6detail16IndexBoundsCheckILm5EiEESD_Lm5ESE_iEENS8_INS9_ISB_SC_Lm4ESE_iEESI_SC_Lm5ESE_iEESJ_iiiiiiiii ; -- Begin function _ZN2at6native12_GLOBAL__N_143conv_depthwise3d_cuda_backward_input_kernelIN3c104HalfEfLi3ELi3ELi3ELin1ELin1ELin1ELin1ELin1ELin1EEEvN5torch10headeronly6detail27GenericPackedTensorAccessorINS7_14TensorAccessorINS3_8ArrayRefIlEEKT_Lm4ENS6_16DefaultPtrTraitsEiEENS_6detail16IndexBoundsCheckILm5EiEESD_Lm5ESE_iEENS8_INS9_ISB_SC_Lm4ESE_iEESI_SC_Lm5ESE_iEESJ_iiiiiiiii
	.p2align	8
	.type	_ZN2at6native12_GLOBAL__N_143conv_depthwise3d_cuda_backward_input_kernelIN3c104HalfEfLi3ELi3ELi3ELin1ELin1ELin1ELin1ELin1ELin1EEEvN5torch10headeronly6detail27GenericPackedTensorAccessorINS7_14TensorAccessorINS3_8ArrayRefIlEEKT_Lm4ENS6_16DefaultPtrTraitsEiEENS_6detail16IndexBoundsCheckILm5EiEESD_Lm5ESE_iEENS8_INS9_ISB_SC_Lm4ESE_iEESI_SC_Lm5ESE_iEESJ_iiiiiiiii,@function
_ZN2at6native12_GLOBAL__N_143conv_depthwise3d_cuda_backward_input_kernelIN3c104HalfEfLi3ELi3ELi3ELin1ELin1ELin1ELin1ELin1ELin1EEEvN5torch10headeronly6detail27GenericPackedTensorAccessorINS7_14TensorAccessorINS3_8ArrayRefIlEEKT_Lm4ENS6_16DefaultPtrTraitsEiEENS_6detail16IndexBoundsCheckILm5EiEESD_Lm5ESE_iEENS8_INS9_ISB_SC_Lm4ESE_iEESI_SC_Lm5ESE_iEESJ_iiiiiiiii: ; @_ZN2at6native12_GLOBAL__N_143conv_depthwise3d_cuda_backward_input_kernelIN3c104HalfEfLi3ELi3ELi3ELin1ELin1ELin1ELin1ELin1ELin1EEEvN5torch10headeronly6detail27GenericPackedTensorAccessorINS7_14TensorAccessorINS3_8ArrayRefIlEEKT_Lm4ENS6_16DefaultPtrTraitsEiEENS_6detail16IndexBoundsCheckILm5EiEESD_Lm5ESE_iEENS8_INS9_ISB_SC_Lm4ESE_iEESI_SC_Lm5ESE_iEESJ_iiiiiiiii
; %bb.0:
	s_mov_b64 s[102:103], s[2:3]
	s_mov_b64 s[100:101], s[0:1]
	s_clause 0x2
	s_load_dwordx4 s[44:47], s[4:5], 0x38
	s_load_dword s2, s[4:5], 0xc4
	s_load_dwordx2 s[64:65], s[4:5], 0x48
	s_add_u32 s100, s100, s7
	s_addc_u32 s101, s101, 0
                                        ; implicit-def: $vgpr127 : SGPR spill to VGPR lane
	s_waitcnt lgkmcnt(0)
	s_abs_i32 s76, s45
	s_add_u32 s0, s4, 0xb8
	v_cvt_f32_u32_e32 v1, s76
	s_addc_u32 s1, s5, 0
	s_and_b32 s2, s2, 0xffff
	v_rcp_iflag_f32_e32 v2, v1
	v_mov_b32_e32 v1, 0
	v_mad_u64_u32 v[0:1], null, s2, s6, v[0:1]
	s_mul_i32 s6, s65, s44
	v_mul_f32_e32 v2, 0x4f7ffffe, v2
	s_ashr_i32 s7, s6, 31
	v_writelane_b32 v127, s6, 0
	v_cmp_gt_i64_e32 vcc_lo, s[6:7], v[0:1]
	v_cvt_u32_f32_e32 v2, v2
	v_writelane_b32 v127, s7, 1
	v_readfirstlane_b32 s3, v2
	s_and_saveexec_b32 s6, vcc_lo
	s_cbranch_execz .LBB25_62
; %bb.1:
	s_clause 0x1
	s_load_dwordx4 s[56:59], s[4:5], 0xc
	s_load_dwordx2 s[12:13], s[4:5], 0x0
	s_sub_i32 s6, 0, s76
	s_load_dword s11, s[4:5], 0x7c
	s_mul_i32 s7, s6, s3
	s_load_dword s0, s[0:1], 0x0
	s_mul_hi_u32 s7, s3, s7
	s_ashr_i32 s9, s45, 31
	s_add_i32 s3, s3, s7
	s_clause 0x1
	s_load_dwordx8 s[48:55], s[4:5], 0x90
	s_load_dword s10, s[4:5], 0xb0
	v_mul_lo_u32 v3, s6, v2
	s_clause 0x3
	s_load_dwordx2 s[70:71], s[4:5], 0x1c
	s_load_dwordx2 s[72:73], s[4:5], 0x30
	;; [unrolled: 1-line block ×3, first 2 shown]
	s_load_dwordx4 s[60:63], s[4:5], 0x50
	s_mov_b32 s78, 0
	v_mul_hi_u32 v3, v2, v3
	s_waitcnt lgkmcnt(0)
	s_abs_i32 s7, s56
	v_writelane_b32 v127, s12, 2
	s_mul_hi_u32 s1, s7, s3
	s_ashr_i32 s3, s56, 31
	s_mul_i32 s8, s1, s76
	s_xor_b32 s3, s3, s9
	v_writelane_b32 v127, s13, 3
	s_sub_i32 s7, s7, s8
	s_add_i32 s8, s1, 1
	s_mul_i32 s0, s0, s2
	v_add_nc_u32_e32 v2, v2, v3
	v_writelane_b32 v127, s9, 4
	s_sub_i32 s9, s7, s76
	s_cmp_ge_u32 s7, s76
	s_cselect_b32 s1, s8, s1
	s_cselect_b32 s7, s9, s7
	s_add_i32 s8, s1, 1
	s_cmp_ge_u32 s7, s76
	v_writelane_b32 v127, s11, 5
	s_cselect_b32 s1, s8, s1
	buffer_store_dword v2, off, s[100:103], 0 offset:12 ; 4-byte Folded Spill
	s_xor_b32 s1, s1, s3
	s_sub_i32 s80, s1, s3
	v_writelane_b32 v127, s0, 6
	s_cmp_gt_i32 s80, 0
	s_cselect_b32 s0, -1, 0
	s_abs_i32 s86, s64
	v_writelane_b32 v127, s0, 7
	v_cvt_f32_u32_e32 v4, s86
	s_abs_i32 s87, s47
	s_abs_i32 s88, s46
	v_cvt_f32_u32_e32 v5, s87
	v_writelane_b32 v127, s10, 8
	v_rcp_iflag_f32_e32 v4, v4
	s_abs_i32 s89, s48
	s_abs_i32 s90, s49
	;; [unrolled: 1-line block ×3, first 2 shown]
	v_cvt_f32_u32_e32 v6, s88
	v_cvt_f32_u32_e32 v7, s89
	;; [unrolled: 1-line block ×4, first 2 shown]
	v_rcp_iflag_f32_e32 v5, v5
	s_lshl_b32 s0, s10, 1
	v_rcp_iflag_f32_e32 v6, v6
	v_writelane_b32 v127, s0, 9
	v_rcp_iflag_f32_e32 v7, v7
	v_rcp_iflag_f32_e32 v8, v8
	;; [unrolled: 1-line block ×3, first 2 shown]
	v_mul_f32_e32 v4, 0x4f7ffffe, v4
	s_lshl_b32 s0, s55, 1
	s_sub_i32 s1, 0, s87
	v_writelane_b32 v127, s0, 10
	v_mul_f32_e32 v5, 0x4f7ffffe, v5
	v_cvt_u32_f32_e32 v4, v4
	s_lshl_b32 s0, s54, 1
	v_mul_f32_e32 v6, 0x4f7ffffe, v6
	v_writelane_b32 v127, s0, 11
	s_sub_i32 s0, 0, s86
	v_mul_f32_e32 v7, 0x4f7ffffe, v7
	v_mul_f32_e32 v8, 0x4f7ffffe, v8
	;; [unrolled: 1-line block ×3, first 2 shown]
	v_cvt_u32_f32_e32 v5, v5
	v_mul_lo_u32 v10, s0, v4
	v_cvt_u32_f32_e32 v6, v6
	v_cvt_u32_f32_e32 v7, v7
	;; [unrolled: 1-line block ×3, first 2 shown]
	v_mul_lo_u32 v11, s1, v5
	v_cvt_u32_f32_e32 v9, v9
	s_sub_i32 s2, 0, s88
	s_sub_i32 s3, 0, s89
	;; [unrolled: 1-line block ×4, first 2 shown]
	v_mul_hi_u32 v10, v4, v10
	v_mul_lo_u32 v12, s2, v6
	v_mul_lo_u32 v13, s3, v7
	;; [unrolled: 1-line block ×4, first 2 shown]
	v_mul_hi_u32 v11, v5, v11
	s_ashr_i32 s0, s64, 31
	s_ashr_i32 s95, s48, 31
	v_writelane_b32 v127, s0, 12
	v_add_nc_u32_e32 v4, v4, v10
	v_mul_hi_u32 v12, v6, v12
	v_mul_hi_u32 v13, v7, v13
	;; [unrolled: 1-line block ×4, first 2 shown]
	s_ashr_i32 s0, s47, 31
	buffer_store_dword v4, off, s[100:103], 0 ; 4-byte Folded Spill
	v_writelane_b32 v127, s0, 13
	v_add_nc_u32_e32 v4, v5, v11
	s_ashr_i32 s0, s46, 31
	v_add_nc_u32_e32 v2, v7, v13
	v_add_nc_u32_e32 v65, v8, v14
	v_writelane_b32 v127, s0, 14
	buffer_store_dword v4, off, s[100:103], 0 offset:4 ; 4-byte Folded Spill
	v_add_nc_u32_e32 v4, v6, v12
	v_add_nc_u32_e32 v66, v9, v15
	s_ashr_i32 s96, s49, 31
	s_ashr_i32 s97, s50, 31
	buffer_store_dword v2, off, s[100:103], 0 offset:16 ; 4-byte Folded Spill
	buffer_store_dword v4, off, s[100:103], 0 offset:8 ; 4-byte Folded Spill
	s_branch .LBB25_4
.LBB25_2:                               ;   in Loop: Header=BB25_4 Depth=1
	s_or_b32 exec_lo, exec_lo, s41
	v_cvt_f16_f32_e32 v2, v76
.LBB25_3:                               ;   in Loop: Header=BB25_4 Depth=1
	v_mul_lo_u32 v3, v70, s65
	v_mul_lo_u32 v5, s60, v71
	;; [unrolled: 1-line block ×3, first 2 shown]
	v_readlane_b32 s0, v127, 6
	v_mul_lo_u32 v9, s62, v68
	v_mul_lo_u32 v11, s63, v67
	v_add_co_u32 v0, vcc_lo, v0, s0
	v_ashrrev_i32_e32 v4, 31, v3
	v_ashrrev_i32_e32 v6, 31, v5
	;; [unrolled: 1-line block ×3, first 2 shown]
	v_add_co_ci_u32_e64 v1, null, 0, v1, vcc_lo
	v_lshlrev_b64 v[3:4], 1, v[3:4]
	v_lshlrev_b64 v[5:6], 1, v[5:6]
	v_ashrrev_i32_e32 v10, 31, v9
	v_ashrrev_i32_e32 v12, 31, v11
	v_readlane_b32 s0, v127, 0
	v_readlane_b32 s1, v127, 1
	v_add_co_u32 v13, vcc_lo, s72, v3
	v_add_co_ci_u32_e64 v14, null, s73, v4, vcc_lo
	v_lshlrev_b64 v[3:4], 1, v[7:8]
	v_add_co_u32 v7, vcc_lo, v13, v5
	v_add_co_ci_u32_e64 v8, null, v14, v6, vcc_lo
	v_lshlrev_b64 v[5:6], 1, v[9:10]
	;; [unrolled: 3-line block ×3, first 2 shown]
	v_add_co_u32 v5, vcc_lo, v7, v5
	v_add_co_ci_u32_e64 v6, null, v8, v6, vcc_lo
	v_cmp_le_i64_e32 vcc_lo, s[0:1], v[0:1]
	v_add_co_u32 v3, s0, v5, v3
	v_add_co_ci_u32_e64 v4, null, v6, v4, s0
	s_or_b32 s78, vcc_lo, s78
	global_store_short v[3:4], v2, off
	s_andn2_b32 exec_lo, exec_lo, s78
	s_cbranch_execz .LBB25_62
.LBB25_4:                               ; =>This Loop Header: Depth=1
                                        ;     Child Loop BB25_7 Depth 2
	buffer_load_dword v3, off, s[100:103], 0 ; 4-byte Folded Reload
	v_sub_nc_u32_e32 v2, 0, v0
	v_readlane_b32 s0, v127, 12
	v_max_i32_e32 v2, v0, v2
	s_waitcnt vmcnt(0)
	v_mul_hi_u32 v3, v2, v3
	v_mul_lo_u32 v4, v3, s86
	v_sub_nc_u32_e32 v2, v2, v4
	v_add_nc_u32_e32 v4, 1, v3
	v_subrev_nc_u32_e32 v5, s86, v2
	v_cmp_le_u32_e32 vcc_lo, s86, v2
	v_cndmask_b32_e32 v3, v3, v4, vcc_lo
	v_cndmask_b32_e32 v2, v2, v5, vcc_lo
	v_ashrrev_i32_e32 v4, 31, v0
	v_add_nc_u32_e32 v5, 1, v3
	v_cmp_le_u32_e32 vcc_lo, s86, v2
	v_xor_b32_e32 v4, s0, v4
	v_readlane_b32 s0, v127, 13
	v_cndmask_b32_e32 v2, v3, v5, vcc_lo
	v_xor_b32_e32 v2, v2, v4
	v_sub_nc_u32_e32 v2, v2, v4
	buffer_load_dword v4, off, s[100:103], 0 offset:4 ; 4-byte Folded Reload
	v_sub_nc_u32_e32 v3, 0, v2
	v_max_i32_e32 v3, v2, v3
	s_waitcnt vmcnt(0)
	v_mul_hi_u32 v4, v3, v4
	v_mul_lo_u32 v5, v4, s87
	v_sub_nc_u32_e32 v3, v3, v5
	v_add_nc_u32_e32 v5, 1, v4
	v_subrev_nc_u32_e32 v6, s87, v3
	v_cmp_le_u32_e32 vcc_lo, s87, v3
	v_cndmask_b32_e32 v4, v4, v5, vcc_lo
	v_cndmask_b32_e32 v3, v3, v6, vcc_lo
	v_ashrrev_i32_e32 v5, 31, v2
	v_add_nc_u32_e32 v6, 1, v4
	v_cmp_le_u32_e32 vcc_lo, s87, v3
	v_xor_b32_e32 v5, s0, v5
	v_readlane_b32 s0, v127, 14
	v_cndmask_b32_e32 v3, v4, v6, vcc_lo
	v_xor_b32_e32 v3, v3, v5
	v_sub_nc_u32_e32 v3, v3, v5
	buffer_load_dword v5, off, s[100:103], 0 offset:8 ; 4-byte Folded Reload
	v_sub_nc_u32_e32 v4, 0, v3
	;; [unrolled: 20-line block ×3, first 2 shown]
	v_max_i32_e32 v5, v4, v5
	s_waitcnt vmcnt(0)
	v_mul_hi_u32 v6, v5, v6
	v_mul_lo_u32 v7, v6, s76
	v_sub_nc_u32_e32 v5, v5, v7
	v_add_nc_u32_e32 v7, 1, v6
	v_subrev_nc_u32_e32 v8, s76, v5
	v_cmp_le_u32_e32 vcc_lo, s76, v5
	v_cndmask_b32_e32 v6, v6, v7, vcc_lo
	v_cndmask_b32_e32 v5, v5, v8, vcc_lo
	v_ashrrev_i32_e32 v7, 31, v4
	v_add_nc_u32_e32 v8, 1, v6
	v_cmp_le_u32_e32 vcc_lo, s76, v5
	v_xor_b32_e32 v7, s0, v7
	v_readlane_b32 s0, v127, 7
	v_cndmask_b32_e32 v5, v6, v8, vcc_lo
	v_mul_lo_u32 v6, v3, s47
	s_andn2_b32 vcc_lo, exec_lo, s0
	v_xor_b32_e32 v5, v5, v7
	v_sub_nc_u32_e32 v68, v2, v6
	v_sub_nc_u32_e32 v70, v5, v7
	v_mul_lo_u32 v5, v2, s64
	v_mul_lo_u32 v7, v4, s46
	;; [unrolled: 1-line block ×3, first 2 shown]
	v_sub_nc_u32_e32 v67, v0, v5
	v_sub_nc_u32_e32 v69, v3, v7
	;; [unrolled: 1-line block ×3, first 2 shown]
	s_cbranch_vccnz .LBB25_61
; %bb.5:                                ;   in Loop: Header=BB25_4 Depth=1
	v_mul_lo_u32 v72, v71, s80
	v_readlane_b32 s0, v127, 5
	v_add_nc_u32_e32 v4, s53, v67
	v_readlane_b32 s1, v127, 9
	buffer_load_dword v12, off, s[100:103], 0 offset:16 ; 4-byte Folded Reload
	v_readlane_b32 s6, v127, 2
	v_readlane_b32 s7, v127, 3
	v_mul_lo_u32 v2, s0, v72
	v_readlane_b32 s0, v127, 8
	v_subrev_nc_u32_e32 v5, s0, v4
	v_ashrrev_i32_e32 v3, 31, v2
	v_sub_nc_u32_e32 v6, 0, v5
	v_lshlrev_b64 v[2:3], 1, v[2:3]
	v_max_i32_e32 v6, v5, v6
	v_add_co_u32 v2, vcc_lo, s74, v2
	v_mul_hi_u32 v7, v6, v66
	v_add_co_ci_u32_e64 v3, null, s75, v3, vcc_lo
	v_mul_lo_u32 v8, v7, s91
	v_sub_nc_u32_e32 v6, v6, v8
	v_add_nc_u32_e32 v8, 1, v7
	v_cmp_le_u32_e32 vcc_lo, s91, v6
	v_cndmask_b32_e32 v7, v7, v8, vcc_lo
	v_subrev_nc_u32_e32 v8, s91, v6
	v_cndmask_b32_e32 v6, v6, v8, vcc_lo
	v_add_nc_u32_e32 v8, 1, v7
	v_cmp_le_u32_e32 vcc_lo, s91, v6
	v_cndmask_b32_e32 v6, v7, v8, vcc_lo
	v_ashrrev_i32_e32 v7, 31, v5
	v_xor_b32_e32 v7, s97, v7
	v_xor_b32_e32 v6, v6, v7
	v_sub_nc_u32_e32 v22, v6, v7
	v_mul_lo_u32 v6, v22, s50
	v_cmp_gt_i32_e64 s43, s59, v22
	v_cmp_eq_u32_e32 vcc_lo, v6, v5
	v_sub_nc_u32_e32 v5, 0, v4
	v_max_i32_e32 v5, v4, v5
	v_mul_hi_u32 v6, v5, v66
	v_mul_lo_u32 v7, v6, s91
	v_sub_nc_u32_e32 v5, v5, v7
	v_add_nc_u32_e32 v7, 1, v6
	v_cmp_le_u32_e64 s0, s91, v5
	v_cndmask_b32_e64 v6, v6, v7, s0
	v_subrev_nc_u32_e32 v7, s91, v5
	v_cndmask_b32_e64 v5, v5, v7, s0
	v_add_nc_u32_e32 v7, 1, v6
	v_cmp_le_u32_e64 s0, s91, v5
	v_cndmask_b32_e64 v5, v6, v7, s0
	v_ashrrev_i32_e32 v6, 31, v4
	v_xor_b32_e32 v6, s97, v6
	v_xor_b32_e32 v5, v5, v6
	v_sub_nc_u32_e32 v23, v5, v6
	v_mul_lo_u32 v5, v23, s50
	v_cmp_gt_i32_e64 s42, s59, v23
	v_cmp_eq_u32_e64 s0, v5, v4
	v_subrev_nc_u32_e32 v4, s1, v4
	v_sub_nc_u32_e32 v5, 0, v4
	v_max_i32_e32 v5, v4, v5
	v_mul_hi_u32 v6, v5, v66
	v_mul_lo_u32 v7, v6, s91
	v_sub_nc_u32_e32 v5, v5, v7
	v_add_nc_u32_e32 v7, 1, v6
	v_cmp_le_u32_e64 s1, s91, v5
	v_cndmask_b32_e64 v6, v6, v7, s1
	v_subrev_nc_u32_e32 v7, s91, v5
	v_cndmask_b32_e64 v5, v5, v7, s1
	v_add_nc_u32_e32 v7, 1, v6
	v_cmp_le_u32_e64 s1, s91, v5
	v_cndmask_b32_e64 v5, v6, v7, s1
	v_ashrrev_i32_e32 v6, 31, v4
	v_xor_b32_e32 v6, s97, v6
	v_xor_b32_e32 v5, v5, v6
	v_sub_nc_u32_e32 v24, v5, v6
	v_mul_lo_u32 v5, v24, s50
	v_cmp_gt_i32_e64 s44, s59, v24
	v_cmp_eq_u32_e64 s1, v5, v4
	v_add_nc_u32_e32 v5, s52, v68
	v_subrev_nc_u32_e32 v6, s55, v5
	v_sub_nc_u32_e32 v4, 0, v6
	v_max_i32_e32 v4, v6, v4
	v_mul_hi_u32 v7, v4, v65
	v_mul_lo_u32 v8, v7, s90
	v_sub_nc_u32_e32 v4, v4, v8
	v_add_nc_u32_e32 v8, 1, v7
	v_cmp_le_u32_e64 s2, s90, v4
	v_cndmask_b32_e64 v7, v7, v8, s2
	v_subrev_nc_u32_e32 v8, s90, v4
	v_cndmask_b32_e64 v4, v4, v8, s2
	v_add_nc_u32_e32 v8, 1, v7
	v_cmp_le_u32_e64 s2, s90, v4
	v_cndmask_b32_e64 v4, v7, v8, s2
	v_ashrrev_i32_e32 v7, 31, v6
	v_xor_b32_e32 v7, s96, v7
	v_xor_b32_e32 v4, v4, v7
	v_sub_nc_u32_e32 v4, v4, v7
	v_mul_lo_u32 v7, v4, s49
	v_cmp_gt_i32_e64 s36, s58, v4
	s_and_b32 s94, s42, s36
	s_and_b32 s66, s43, s36
	v_cmp_eq_u32_e64 s3, v7, v6
	v_sub_nc_u32_e32 v6, 0, v5
	s_and_b32 s67, s44, s36
	v_max_i32_e32 v6, v5, v6
	v_mul_hi_u32 v7, v6, v65
	v_mul_lo_u32 v8, v7, s90
	v_sub_nc_u32_e32 v6, v6, v8
	v_subrev_nc_u32_e32 v8, s90, v6
	v_cmp_le_u32_e64 s2, s90, v6
	v_cndmask_b32_e64 v6, v6, v8, s2
	v_add_nc_u32_e32 v8, 1, v7
	v_cndmask_b32_e64 v7, v7, v8, s2
	v_cmp_le_u32_e64 s2, s90, v6
	v_add_nc_u32_e32 v8, 1, v7
	v_cndmask_b32_e64 v6, v7, v8, s2
	v_ashrrev_i32_e32 v7, 31, v5
	v_readlane_b32 s2, v127, 10
	v_xor_b32_e32 v7, s96, v7
	v_xor_b32_e32 v6, v6, v7
	v_sub_nc_u32_e32 v6, v6, v7
	v_mul_lo_u32 v7, v6, s49
	v_cmp_gt_i32_e64 s37, s58, v6
	s_and_b32 s77, s42, s37
	s_and_b32 s81, s43, s37
	v_cmp_eq_u32_e64 s4, v7, v5
	v_subrev_nc_u32_e32 v7, s2, v5
	s_and_b32 s82, s44, s37
	v_sub_nc_u32_e32 v5, 0, v7
	v_max_i32_e32 v5, v7, v5
	v_mul_hi_u32 v8, v5, v65
	v_mul_lo_u32 v9, v8, s90
	v_sub_nc_u32_e32 v5, v5, v9
	v_subrev_nc_u32_e32 v9, s90, v5
	v_cmp_le_u32_e64 s2, s90, v5
	v_cndmask_b32_e64 v5, v5, v9, s2
	v_add_nc_u32_e32 v9, 1, v8
	v_cndmask_b32_e64 v8, v8, v9, s2
	v_cmp_le_u32_e64 s2, s90, v5
	v_add_nc_u32_e32 v9, 1, v8
	v_cndmask_b32_e64 v5, v8, v9, s2
	v_ashrrev_i32_e32 v8, 31, v7
	v_add_nc_u32_e32 v9, s51, v69
	v_xor_b32_e32 v8, s96, v8
	v_xor_b32_e32 v5, v5, v8
	v_sub_nc_u32_e32 v5, v5, v8
	v_mul_lo_u32 v8, v5, s49
	v_cmp_gt_i32_e64 s35, s58, v5
	s_and_b32 s68, s42, s35
	s_and_b32 s92, s43, s35
	v_cmp_eq_u32_e64 s2, v8, v7
	v_subrev_nc_u32_e32 v8, s54, v9
	s_and_b32 s93, s44, s35
	v_sub_nc_u32_e32 v7, 0, v8
	v_max_i32_e32 v7, v8, v7
	s_waitcnt vmcnt(0)
	v_mul_hi_u32 v10, v7, v12
	v_mul_lo_u32 v11, v10, s89
	v_sub_nc_u32_e32 v7, v7, v11
	v_subrev_nc_u32_e32 v11, s89, v7
	v_cmp_le_u32_e64 s5, s89, v7
	v_cndmask_b32_e64 v7, v7, v11, s5
	v_add_nc_u32_e32 v11, 1, v10
	v_cndmask_b32_e64 v10, v10, v11, s5
	v_cmp_le_u32_e64 s5, s89, v7
	v_add_nc_u32_e32 v11, 1, v10
	v_cndmask_b32_e64 v7, v10, v11, s5
	v_ashrrev_i32_e32 v10, 31, v8
	v_xor_b32_e32 v10, s95, v10
	v_xor_b32_e32 v7, v7, v10
	v_sub_nc_u32_e32 v7, v7, v10
	v_mul_lo_u32 v10, v7, s48
	v_cmp_gt_i32_e64 s33, s57, v7
	v_cmp_eq_u32_e64 s12, v10, v8
	v_sub_nc_u32_e32 v8, 0, v9
	s_and_b32 s69, s12, s3
	v_max_i32_e32 v8, v9, v8
	v_mul_hi_u32 v10, v8, v12
	v_mul_lo_u32 v11, v10, s89
	v_sub_nc_u32_e32 v8, v8, v11
	v_subrev_nc_u32_e32 v11, s89, v8
	v_cmp_le_u32_e64 s5, s89, v8
	v_cndmask_b32_e64 v8, v8, v11, s5
	v_add_nc_u32_e32 v11, 1, v10
	v_cndmask_b32_e64 v10, v10, v11, s5
	v_cmp_le_u32_e64 s5, s89, v8
	v_add_nc_u32_e32 v11, 1, v10
	v_cndmask_b32_e64 v8, v10, v11, s5
	v_ashrrev_i32_e32 v10, 31, v9
	v_readlane_b32 s5, v127, 11
	v_xor_b32_e32 v10, s95, v10
	v_xor_b32_e32 v8, v8, v10
	v_sub_nc_u32_e32 v8, v8, v10
	v_mul_lo_u32 v10, v8, s48
	v_cmp_gt_i32_e64 s34, s57, v8
	v_cmp_eq_u32_e64 s13, v10, v9
	v_subrev_nc_u32_e32 v10, s5, v9
	s_and_b32 s56, s13, s4
	v_sub_nc_u32_e32 v9, 0, v10
	v_max_i32_e32 v9, v10, v9
	v_mul_hi_u32 v11, v9, v12
	v_mul_lo_u32 v12, v11, s89
	v_sub_nc_u32_e32 v9, v9, v12
	v_subrev_nc_u32_e32 v12, s89, v9
	v_cmp_le_u32_e64 s5, s89, v9
	v_cndmask_b32_e64 v9, v9, v12, s5
	v_add_nc_u32_e32 v12, 1, v11
	v_cndmask_b32_e64 v11, v11, v12, s5
	v_cmp_le_u32_e64 s5, s89, v9
	v_add_nc_u32_e32 v12, 1, v11
	v_cndmask_b32_e64 v9, v11, v12, s5
	v_ashrrev_i32_e32 v11, 31, v10
	v_xor_b32_e32 v11, s95, v11
	v_xor_b32_e32 v9, v9, v11
	v_sub_nc_u32_e32 v9, v9, v11
	v_mul_lo_u32 v11, v9, s48
	v_cmp_gt_i32_e64 s28, s57, v9
	v_cmp_eq_u32_e64 s10, v11, v10
	v_mul_lo_u32 v10, s70, v70
	v_ashrrev_i32_e32 v11, 31, v10
	v_lshlrev_b64 v[10:11], 1, v[10:11]
	v_add_co_u32 v73, s5, s6, v10
	v_or_b32_e32 v10, v23, v6
	v_add_co_ci_u32_e64 v74, null, s7, v11, s5
	v_or_b32_e32 v11, v10, v8
	v_cmp_lt_i32_e64 s6, -1, v11
	v_or_b32_e32 v11, v22, v6
	s_and_b32 s6, s77, s6
	v_or_b32_e32 v12, v11, v8
	s_and_b32 s98, s6, s34
	v_cmp_lt_i32_e64 s5, -1, v12
	v_or_b32_e32 v12, v24, v6
	s_and_b32 s6, s81, s5
	v_or_b32_e32 v13, v12, v8
	s_and_b32 s5, s56, s0
	s_and_b32 s99, s6, s34
	s_and_b32 s6, s56, vcc_lo
	v_cmp_lt_i32_e64 s7, -1, v13
	v_or_b32_e32 v13, v23, v4
	s_and_b32 s7, s82, s7
	v_or_b32_e32 v14, v13, v8
	s_and_b32 s37, s7, s34
	s_and_b32 s7, s56, s1
	;; [unrolled: 1-line block ×3, first 2 shown]
	v_cmp_lt_i32_e64 s11, -1, v14
	v_or_b32_e32 v14, v22, v4
	s_and_b32 s11, s94, s11
	v_or_b32_e32 v15, v14, v8
	s_and_b32 s104, s11, s34
	v_cmp_lt_i32_e64 s8, -1, v15
	v_or_b32_e32 v15, v24, v4
	s_and_b32 s11, s66, s8
	v_or_b32_e32 v16, v15, v8
	s_and_b32 vcc_hi, s11, s34
	s_and_b32 s8, s56, s0
	v_cmp_lt_i32_e64 s9, -1, v16
	v_or_b32_e32 v16, v23, v5
	s_and_b32 s11, s67, s9
	v_or_b32_e32 v17, v16, v8
	s_and_b32 s9, s56, vcc_lo
	s_and_b32 s36, s11, s34
	s_and_b32 s11, s56, s1
	;; [unrolled: 1-line block ×3, first 2 shown]
	v_cmp_lt_i32_e64 s30, -1, v17
	v_or_b32_e32 v17, v22, v5
	s_and_b32 s13, s56, s0
	s_and_b32 s30, s68, s30
	v_or_b32_e32 v18, v17, v8
	s_and_b32 s30, s30, s34
	v_cmp_lt_i32_e64 s14, -1, v18
	v_or_b32_e32 v18, v24, v5
	s_and_b32 s14, s92, s14
	v_or_b32_e32 v19, v18, v8
	s_and_b32 s42, s14, s34
	s_and_b32 s14, s56, vcc_lo
	v_cmp_lt_i32_e64 s15, -1, v19
	v_or_b32_e32 v19, v10, v7
	v_or_b32_e32 v10, v10, v9
	s_and_b32 s15, s93, s15
	v_cmp_lt_i32_e64 s18, -1, v19
	v_or_b32_e32 v19, v11, v7
	v_cmp_lt_i32_e64 s25, -1, v10
	v_or_b32_e32 v10, v11, v9
	v_or_b32_e32 v11, v16, v9
	s_and_b32 s18, s77, s18
	v_cmp_lt_i32_e64 s16, -1, v19
	v_or_b32_e32 v19, v12, v7
	;; [unrolled: 6-line block ×3, first 2 shown]
	v_cmp_lt_i32_e64 s29, -1, v10
	v_or_b32_e32 v10, v13, v9
	v_mul_lo_u32 v13, v8, s58
	s_and_b32 s18, s81, s16
	v_cmp_lt_i32_e64 s21, -1, v19
	v_or_b32_e32 v19, v14, v7
	v_cmp_lt_i32_e64 s27, -1, v10
	v_or_b32_e32 v10, v14, v9
	s_and_b32 s34, s15, s34
	s_and_b32 s15, s56, s1
	v_cmp_lt_i32_e64 s19, -1, v19
	v_or_b32_e32 v19, v15, v7
	v_mul_lo_u32 v15, v7, s58
	v_cmp_lt_i32_e64 s31, -1, v10
	v_or_b32_e32 v10, v17, v9
	v_add_nc_u32_e32 v8, v4, v13
	v_cmp_lt_i32_e64 s20, -1, v19
	v_or_b32_e32 v19, v16, v7
	v_mul_lo_u32 v16, v9, s58
	v_add_nc_u32_e32 v14, v5, v13
	v_add_nc_u32_e32 v20, v6, v15
	;; [unrolled: 1-line block ×3, first 2 shown]
	v_cmp_lt_i32_e64 s23, -1, v19
	v_or_b32_e32 v19, v17, v7
	v_add_nc_u32_e32 v29, v4, v15
	v_mul_lo_u32 v34, v20, s59
	v_add_nc_u32_e32 v27, v6, v16
	v_add_nc_u32_e32 v26, v4, v16
	v_cmp_lt_i32_e64 s22, -1, v19
	v_or_b32_e32 v19, v18, v7
	v_or_b32_e32 v7, v18, v9
	v_add_nc_u32_e32 v9, v6, v13
	v_add_nc_u32_e32 v25, v5, v16
	v_mul_lo_u32 v28, v28, s59
	v_mul_lo_u32 v27, v27, s59
	v_mul_lo_u32 v26, v26, s59
	v_mul_lo_u32 v9, v9, s59
	v_mul_lo_u32 v15, v8, s59
	v_mul_lo_u32 v21, v14, s59
	v_mul_lo_u32 v29, v29, s59
	v_mul_lo_u32 v25, v25, s59
	v_cmp_lt_i32_e64 s24, -1, v19
	s_and_b32 s23, s68, s23
	s_and_b32 s56, s12, s4
	v_add_nc_u32_e32 v30, v23, v34
	s_and_b32 s43, s18, s33
	v_add_nc_u32_e32 v32, v22, v34
	;; [unrolled: 2-line block ×3, first 2 shown]
	s_and_b32 s21, s94, s21
	s_and_b32 s85, s23, s33
	v_add_nc_u32_e32 v42, v23, v28
	s_and_b32 s23, s93, s24
	s_and_b32 s24, s77, s25
	v_add_nc_u32_e32 v50, v22, v27
	v_add_nc_u32_e32 v58, v24, v26
	v_cmp_lt_i32_e64 s40, -1, v12
	v_cmp_lt_i32_e64 s38, -1, v10
	v_add_nc_u32_e32 v4, v23, v9
	v_add_nc_u32_e32 v6, v22, v9
	v_add_nc_u32_e32 v8, v24, v9
	v_add_nc_u32_e32 v10, v23, v15
	v_add_nc_u32_e32 v12, v22, v15
	v_add_nc_u32_e32 v14, v24, v15
	v_add_nc_u32_e32 v16, v23, v21
	v_add_nc_u32_e32 v18, v22, v21
	v_add_nc_u32_e32 v20, v24, v21
	s_and_b32 s16, s56, s0
	s_and_b32 s17, s56, vcc_lo
	s_and_b32 s44, s18, s33
	s_and_b32 s18, s56, s1
	s_and_b32 s56, s21, s33
	v_add_nc_u32_e32 v36, v23, v29
	s_and_b32 s21, s66, s19
	v_add_nc_u32_e32 v38, v22, v29
	v_add_nc_u32_e32 v40, v24, v29
	;; [unrolled: 1-line block ×4, first 2 shown]
	s_and_b32 s77, s24, s28
	v_add_nc_u32_e32 v48, v23, v27
	s_and_b32 s24, s81, s26
	s_and_b32 s26, s82, s29
	v_add_nc_u32_e32 v52, v24, v27
	v_add_nc_u32_e32 v54, v23, v26
	;; [unrolled: 1-line block ×6, first 2 shown]
	s_and_b32 s83, s21, s33
	s_and_b32 s21, s67, s20
	;; [unrolled: 1-line block ×4, first 2 shown]
	v_ashrrev_i32_e32 v35, 31, v34
	v_ashrrev_i32_e32 v43, 31, v42
	;; [unrolled: 1-line block ×4, first 2 shown]
	s_and_b32 s19, s69, s0
	s_and_b32 s20, s69, vcc_lo
	s_and_b32 s84, s21, s33
	s_and_b32 s21, s69, s1
	;; [unrolled: 1-line block ×9, first 2 shown]
	v_cmp_lt_i32_e64 s41, -1, v11
	v_cmp_lt_i32_e64 s39, -1, v7
	v_ashrrev_i32_e32 v5, 31, v4
	v_ashrrev_i32_e32 v7, 31, v6
	;; [unrolled: 1-line block ×23, first 2 shown]
	s_and_b32 s12, s69, s0
	s_and_b32 s79, s22, s33
	s_and_b32 s22, s69, vcc_lo
	s_and_b32 s33, s23, s33
	s_and_b32 s23, s69, s1
	;; [unrolled: 1-line block ×4, first 2 shown]
	s_and_b32 s24, s25, vcc_lo
	s_and_b32 s25, s25, s1
	s_and_b32 s3, s27, s0
	;; [unrolled: 1-line block ×3, first 2 shown]
	s_and_b32 s26, s27, vcc_lo
	s_and_b32 s27, s27, s1
	s_and_b32 s0, s2, s0
	s_and_b32 vcc_lo, s2, vcc_lo
	s_and_b32 s1, s2, s1
	s_mul_i32 s2, s71, s80
	v_lshlrev_b64 v[26:27], 1, v[34:35]
	v_lshlrev_b64 v[34:35], 1, v[42:43]
	;; [unrolled: 1-line block ×4, first 2 shown]
	v_mul_lo_u32 v58, s2, v71
	v_lshlrev_b64 v[4:5], 1, v[4:5]
	v_lshlrev_b64 v[6:7], 1, v[6:7]
	;; [unrolled: 1-line block ×23, first 2 shown]
	v_add_nc_u32_e32 v75, s80, v72
	v_mov_b32_e32 v76, 0
	s_and_b32 s40, s67, s40
	s_and_b32 s41, s68, s41
	s_and_b32 s38, s92, s38
	s_and_b32 s39, s93, s39
	s_and_b32 s40, s40, s28
	s_and_b32 s10, s41, s28
	s_mov_b32 s41, 0
	s_and_b32 s38, s38, s28
	s_and_b32 s28, s39, s28
	s_branch .LBB25_7
.LBB25_6:                               ;   in Loop: Header=BB25_7 Depth=2
	s_or_b32 exec_lo, exec_lo, s39
	s_waitcnt vmcnt(26)
	v_fma_mix_f32 v59, v59, v77, v76 op_sel_hi:[0,1,0]
	v_add_nc_u32_e32 v72, 1, v72
	v_add_co_u32 v2, s2, v2, 54
	v_add_co_ci_u32_e64 v3, null, 0, v3, s2
	v_cndmask_b32_e64 v59, v76, v59, s5
	v_cmp_ge_i32_e64 s2, v72, v75
	v_add_nc_u32_e32 v58, s71, v58
	s_waitcnt vmcnt(25)
	v_fma_mix_f32 v76, v82, v80, v59 op_sel_hi:[0,1,0]
	s_or_b32 s41, s2, s41
	v_cndmask_b32_e64 v59, v59, v76, s6
	s_waitcnt vmcnt(24)
	v_fma_mix_f32 v76, v81, v83, v59 op_sel_hi:[0,1,0]
	v_cndmask_b32_e64 v59, v59, v76, s7
	s_waitcnt vmcnt(23)
	v_fma_mix_f32 v76, v86, v84, v59 op_sel_hi:[0,1,0]
	;; [unrolled: 3-line block ×24, first 2 shown]
	v_cndmask_b32_e32 v59, v59, v60, vcc_lo
	s_waitcnt vmcnt(0)
	v_fma_mix_f32 v60, v62, v64, v59 op_sel_hi:[0,1,0]
	v_cndmask_b32_e64 v76, v59, v60, s1
	s_andn2_b32 exec_lo, exec_lo, s41
	s_cbranch_execz .LBB25_2
.LBB25_7:                               ;   Parent Loop BB25_4 Depth=1
                                        ; =>  This Inner Loop Header: Depth=2
	global_load_ushort v77, v[2:3], off
	v_ashrrev_i32_e32 v59, 31, v58
	v_lshlrev_b64 v[59:60], 1, v[58:59]
	v_add_co_u32 v78, s2, v73, v59
	v_add_co_ci_u32_e64 v79, null, v74, v60, s2
	v_mov_b32_e32 v59, 0
	s_and_saveexec_b32 s39, s98
	s_cbranch_execz .LBB25_9
; %bb.8:                                ;   in Loop: Header=BB25_7 Depth=2
	v_add_co_u32 v59, s2, v78, v4
	v_add_co_ci_u32_e64 v60, null, v79, v5, s2
	global_load_ushort v59, v[59:60], off
	s_waitcnt vmcnt(0)
	v_cvt_f32_f16_e32 v59, v59
.LBB25_9:                               ;   in Loop: Header=BB25_7 Depth=2
	s_or_b32 exec_lo, exec_lo, s39
	global_load_ushort v80, v[2:3], off offset:2
	v_mov_b32_e32 v81, 0
	v_mov_b32_e32 v82, 0
	s_and_saveexec_b32 s39, s99
	s_cbranch_execz .LBB25_11
; %bb.10:                               ;   in Loop: Header=BB25_7 Depth=2
	v_add_co_u32 v60, s2, v78, v6
	v_add_co_ci_u32_e64 v61, null, v79, v7, s2
	global_load_ushort v60, v[60:61], off
	s_waitcnt vmcnt(0)
	v_cvt_f32_f16_e32 v82, v60
.LBB25_11:                              ;   in Loop: Header=BB25_7 Depth=2
	s_or_b32 exec_lo, exec_lo, s39
	global_load_ushort v83, v[2:3], off offset:4
	s_and_saveexec_b32 s39, s37
	s_cbranch_execz .LBB25_13
; %bb.12:                               ;   in Loop: Header=BB25_7 Depth=2
	v_add_co_u32 v60, s2, v78, v8
	v_add_co_ci_u32_e64 v61, null, v79, v9, s2
	global_load_ushort v60, v[60:61], off
	s_waitcnt vmcnt(0)
	v_cvt_f32_f16_e32 v81, v60
.LBB25_13:                              ;   in Loop: Header=BB25_7 Depth=2
	s_or_b32 exec_lo, exec_lo, s39
	global_load_ushort v84, v[2:3], off offset:6
	v_mov_b32_e32 v85, 0
	v_mov_b32_e32 v86, 0
	s_and_saveexec_b32 s39, s104
	s_cbranch_execz .LBB25_15
; %bb.14:                               ;   in Loop: Header=BB25_7 Depth=2
	v_add_co_u32 v60, s2, v78, v10
	v_add_co_ci_u32_e64 v61, null, v79, v11, s2
	global_load_ushort v60, v[60:61], off
	s_waitcnt vmcnt(0)
	v_cvt_f32_f16_e32 v86, v60
.LBB25_15:                              ;   in Loop: Header=BB25_7 Depth=2
	s_or_b32 exec_lo, exec_lo, s39
	global_load_ushort v87, v[2:3], off offset:8
	s_and_saveexec_b32 s39, vcc_hi
	s_cbranch_execz .LBB25_17
; %bb.16:                               ;   in Loop: Header=BB25_7 Depth=2
	v_add_co_u32 v60, s2, v78, v12
	v_add_co_ci_u32_e64 v61, null, v79, v13, s2
	global_load_ushort v60, v[60:61], off
	s_waitcnt vmcnt(0)
	v_cvt_f32_f16_e32 v85, v60
.LBB25_17:                              ;   in Loop: Header=BB25_7 Depth=2
	s_or_b32 exec_lo, exec_lo, s39
	global_load_ushort v88, v[2:3], off offset:10
	v_mov_b32_e32 v89, 0
	v_mov_b32_e32 v90, 0
	s_and_saveexec_b32 s39, s36
	s_cbranch_execz .LBB25_19
; %bb.18:                               ;   in Loop: Header=BB25_7 Depth=2
	v_add_co_u32 v60, s2, v78, v14
	v_add_co_ci_u32_e64 v61, null, v79, v15, s2
	global_load_ushort v60, v[60:61], off
	s_waitcnt vmcnt(0)
	v_cvt_f32_f16_e32 v90, v60
.LBB25_19:                              ;   in Loop: Header=BB25_7 Depth=2
	s_or_b32 exec_lo, exec_lo, s39
	global_load_ushort v91, v[2:3], off offset:12
	s_and_saveexec_b32 s39, s30
	s_cbranch_execz .LBB25_21
; %bb.20:                               ;   in Loop: Header=BB25_7 Depth=2
	v_add_co_u32 v60, s2, v78, v16
	v_add_co_ci_u32_e64 v61, null, v79, v17, s2
	global_load_ushort v60, v[60:61], off
	s_waitcnt vmcnt(0)
	v_cvt_f32_f16_e32 v89, v60
.LBB25_21:                              ;   in Loop: Header=BB25_7 Depth=2
	s_or_b32 exec_lo, exec_lo, s39
	global_load_ushort v92, v[2:3], off offset:14
	v_mov_b32_e32 v93, 0
	v_mov_b32_e32 v94, 0
	s_and_saveexec_b32 s39, s42
	s_cbranch_execz .LBB25_23
; %bb.22:                               ;   in Loop: Header=BB25_7 Depth=2
	v_add_co_u32 v60, s2, v78, v18
	v_add_co_ci_u32_e64 v61, null, v79, v19, s2
	global_load_ushort v60, v[60:61], off
	s_waitcnt vmcnt(0)
	v_cvt_f32_f16_e32 v94, v60
.LBB25_23:                              ;   in Loop: Header=BB25_7 Depth=2
	s_or_b32 exec_lo, exec_lo, s39
	global_load_ushort v95, v[2:3], off offset:16
	s_and_saveexec_b32 s39, s34
	;; [unrolled: 24-line block ×11, first 2 shown]
	s_cbranch_execz .LBB25_6
; %bb.60:                               ;   in Loop: Header=BB25_7 Depth=2
	v_add_co_u32 v78, s2, v78, v56
	v_add_co_ci_u32_e64 v79, null, v79, v57, s2
	global_load_ushort v62, v[78:79], off
	s_waitcnt vmcnt(0)
	v_cvt_f32_f16_e32 v62, v62
	s_branch .LBB25_6
.LBB25_61:                              ;   in Loop: Header=BB25_4 Depth=1
	v_mov_b32_e32 v2, 0
	s_branch .LBB25_3
.LBB25_62:
	s_endpgm
	.section	.rodata,"a",@progbits
	.p2align	6, 0x0
	.amdhsa_kernel _ZN2at6native12_GLOBAL__N_143conv_depthwise3d_cuda_backward_input_kernelIN3c104HalfEfLi3ELi3ELi3ELin1ELin1ELin1ELin1ELin1ELin1EEEvN5torch10headeronly6detail27GenericPackedTensorAccessorINS7_14TensorAccessorINS3_8ArrayRefIlEEKT_Lm4ENS6_16DefaultPtrTraitsEiEENS_6detail16IndexBoundsCheckILm5EiEESD_Lm5ESE_iEENS8_INS9_ISB_SC_Lm4ESE_iEESI_SC_Lm5ESE_iEESJ_iiiiiiiii
		.amdhsa_group_segment_fixed_size 0
		.amdhsa_private_segment_fixed_size 24
		.amdhsa_kernarg_size 440
		.amdhsa_user_sgpr_count 6
		.amdhsa_user_sgpr_private_segment_buffer 1
		.amdhsa_user_sgpr_dispatch_ptr 0
		.amdhsa_user_sgpr_queue_ptr 0
		.amdhsa_user_sgpr_kernarg_segment_ptr 1
		.amdhsa_user_sgpr_dispatch_id 0
		.amdhsa_user_sgpr_flat_scratch_init 0
		.amdhsa_user_sgpr_private_segment_size 0
		.amdhsa_wavefront_size32 1
		.amdhsa_uses_dynamic_stack 0
		.amdhsa_system_sgpr_private_segment_wavefront_offset 1
		.amdhsa_system_sgpr_workgroup_id_x 1
		.amdhsa_system_sgpr_workgroup_id_y 0
		.amdhsa_system_sgpr_workgroup_id_z 0
		.amdhsa_system_sgpr_workgroup_info 0
		.amdhsa_system_vgpr_workitem_id 0
		.amdhsa_next_free_vgpr 128
		.amdhsa_next_free_sgpr 105
		.amdhsa_reserve_vcc 1
		.amdhsa_reserve_flat_scratch 0
		.amdhsa_float_round_mode_32 0
		.amdhsa_float_round_mode_16_64 0
		.amdhsa_float_denorm_mode_32 3
		.amdhsa_float_denorm_mode_16_64 3
		.amdhsa_dx10_clamp 1
		.amdhsa_ieee_mode 1
		.amdhsa_fp16_overflow 0
		.amdhsa_workgroup_processor_mode 1
		.amdhsa_memory_ordered 1
		.amdhsa_forward_progress 1
		.amdhsa_shared_vgpr_count 0
		.amdhsa_exception_fp_ieee_invalid_op 0
		.amdhsa_exception_fp_denorm_src 0
		.amdhsa_exception_fp_ieee_div_zero 0
		.amdhsa_exception_fp_ieee_overflow 0
		.amdhsa_exception_fp_ieee_underflow 0
		.amdhsa_exception_fp_ieee_inexact 0
		.amdhsa_exception_int_div_zero 0
	.end_amdhsa_kernel
	.section	.text._ZN2at6native12_GLOBAL__N_143conv_depthwise3d_cuda_backward_input_kernelIN3c104HalfEfLi3ELi3ELi3ELin1ELin1ELin1ELin1ELin1ELin1EEEvN5torch10headeronly6detail27GenericPackedTensorAccessorINS7_14TensorAccessorINS3_8ArrayRefIlEEKT_Lm4ENS6_16DefaultPtrTraitsEiEENS_6detail16IndexBoundsCheckILm5EiEESD_Lm5ESE_iEENS8_INS9_ISB_SC_Lm4ESE_iEESI_SC_Lm5ESE_iEESJ_iiiiiiiii,"axG",@progbits,_ZN2at6native12_GLOBAL__N_143conv_depthwise3d_cuda_backward_input_kernelIN3c104HalfEfLi3ELi3ELi3ELin1ELin1ELin1ELin1ELin1ELin1EEEvN5torch10headeronly6detail27GenericPackedTensorAccessorINS7_14TensorAccessorINS3_8ArrayRefIlEEKT_Lm4ENS6_16DefaultPtrTraitsEiEENS_6detail16IndexBoundsCheckILm5EiEESD_Lm5ESE_iEENS8_INS9_ISB_SC_Lm4ESE_iEESI_SC_Lm5ESE_iEESJ_iiiiiiiii,comdat
.Lfunc_end25:
	.size	_ZN2at6native12_GLOBAL__N_143conv_depthwise3d_cuda_backward_input_kernelIN3c104HalfEfLi3ELi3ELi3ELin1ELin1ELin1ELin1ELin1ELin1EEEvN5torch10headeronly6detail27GenericPackedTensorAccessorINS7_14TensorAccessorINS3_8ArrayRefIlEEKT_Lm4ENS6_16DefaultPtrTraitsEiEENS_6detail16IndexBoundsCheckILm5EiEESD_Lm5ESE_iEENS8_INS9_ISB_SC_Lm4ESE_iEESI_SC_Lm5ESE_iEESJ_iiiiiiiii, .Lfunc_end25-_ZN2at6native12_GLOBAL__N_143conv_depthwise3d_cuda_backward_input_kernelIN3c104HalfEfLi3ELi3ELi3ELin1ELin1ELin1ELin1ELin1ELin1EEEvN5torch10headeronly6detail27GenericPackedTensorAccessorINS7_14TensorAccessorINS3_8ArrayRefIlEEKT_Lm4ENS6_16DefaultPtrTraitsEiEENS_6detail16IndexBoundsCheckILm5EiEESD_Lm5ESE_iEENS8_INS9_ISB_SC_Lm4ESE_iEESI_SC_Lm5ESE_iEESJ_iiiiiiiii
                                        ; -- End function
	.set _ZN2at6native12_GLOBAL__N_143conv_depthwise3d_cuda_backward_input_kernelIN3c104HalfEfLi3ELi3ELi3ELin1ELin1ELin1ELin1ELin1ELin1EEEvN5torch10headeronly6detail27GenericPackedTensorAccessorINS7_14TensorAccessorINS3_8ArrayRefIlEEKT_Lm4ENS6_16DefaultPtrTraitsEiEENS_6detail16IndexBoundsCheckILm5EiEESD_Lm5ESE_iEENS8_INS9_ISB_SC_Lm4ESE_iEESI_SC_Lm5ESE_iEESJ_iiiiiiiii.num_vgpr, 128
	.set _ZN2at6native12_GLOBAL__N_143conv_depthwise3d_cuda_backward_input_kernelIN3c104HalfEfLi3ELi3ELi3ELin1ELin1ELin1ELin1ELin1ELin1EEEvN5torch10headeronly6detail27GenericPackedTensorAccessorINS7_14TensorAccessorINS3_8ArrayRefIlEEKT_Lm4ENS6_16DefaultPtrTraitsEiEENS_6detail16IndexBoundsCheckILm5EiEESD_Lm5ESE_iEENS8_INS9_ISB_SC_Lm4ESE_iEESI_SC_Lm5ESE_iEESJ_iiiiiiiii.num_agpr, 0
	.set _ZN2at6native12_GLOBAL__N_143conv_depthwise3d_cuda_backward_input_kernelIN3c104HalfEfLi3ELi3ELi3ELin1ELin1ELin1ELin1ELin1ELin1EEEvN5torch10headeronly6detail27GenericPackedTensorAccessorINS7_14TensorAccessorINS3_8ArrayRefIlEEKT_Lm4ENS6_16DefaultPtrTraitsEiEENS_6detail16IndexBoundsCheckILm5EiEESD_Lm5ESE_iEENS8_INS9_ISB_SC_Lm4ESE_iEESI_SC_Lm5ESE_iEESJ_iiiiiiiii.numbered_sgpr, 105
	.set _ZN2at6native12_GLOBAL__N_143conv_depthwise3d_cuda_backward_input_kernelIN3c104HalfEfLi3ELi3ELi3ELin1ELin1ELin1ELin1ELin1ELin1EEEvN5torch10headeronly6detail27GenericPackedTensorAccessorINS7_14TensorAccessorINS3_8ArrayRefIlEEKT_Lm4ENS6_16DefaultPtrTraitsEiEENS_6detail16IndexBoundsCheckILm5EiEESD_Lm5ESE_iEENS8_INS9_ISB_SC_Lm4ESE_iEESI_SC_Lm5ESE_iEESJ_iiiiiiiii.num_named_barrier, 0
	.set _ZN2at6native12_GLOBAL__N_143conv_depthwise3d_cuda_backward_input_kernelIN3c104HalfEfLi3ELi3ELi3ELin1ELin1ELin1ELin1ELin1ELin1EEEvN5torch10headeronly6detail27GenericPackedTensorAccessorINS7_14TensorAccessorINS3_8ArrayRefIlEEKT_Lm4ENS6_16DefaultPtrTraitsEiEENS_6detail16IndexBoundsCheckILm5EiEESD_Lm5ESE_iEENS8_INS9_ISB_SC_Lm4ESE_iEESI_SC_Lm5ESE_iEESJ_iiiiiiiii.private_seg_size, 24
	.set _ZN2at6native12_GLOBAL__N_143conv_depthwise3d_cuda_backward_input_kernelIN3c104HalfEfLi3ELi3ELi3ELin1ELin1ELin1ELin1ELin1ELin1EEEvN5torch10headeronly6detail27GenericPackedTensorAccessorINS7_14TensorAccessorINS3_8ArrayRefIlEEKT_Lm4ENS6_16DefaultPtrTraitsEiEENS_6detail16IndexBoundsCheckILm5EiEESD_Lm5ESE_iEENS8_INS9_ISB_SC_Lm4ESE_iEESI_SC_Lm5ESE_iEESJ_iiiiiiiii.uses_vcc, 1
	.set _ZN2at6native12_GLOBAL__N_143conv_depthwise3d_cuda_backward_input_kernelIN3c104HalfEfLi3ELi3ELi3ELin1ELin1ELin1ELin1ELin1ELin1EEEvN5torch10headeronly6detail27GenericPackedTensorAccessorINS7_14TensorAccessorINS3_8ArrayRefIlEEKT_Lm4ENS6_16DefaultPtrTraitsEiEENS_6detail16IndexBoundsCheckILm5EiEESD_Lm5ESE_iEENS8_INS9_ISB_SC_Lm4ESE_iEESI_SC_Lm5ESE_iEESJ_iiiiiiiii.uses_flat_scratch, 0
	.set _ZN2at6native12_GLOBAL__N_143conv_depthwise3d_cuda_backward_input_kernelIN3c104HalfEfLi3ELi3ELi3ELin1ELin1ELin1ELin1ELin1ELin1EEEvN5torch10headeronly6detail27GenericPackedTensorAccessorINS7_14TensorAccessorINS3_8ArrayRefIlEEKT_Lm4ENS6_16DefaultPtrTraitsEiEENS_6detail16IndexBoundsCheckILm5EiEESD_Lm5ESE_iEENS8_INS9_ISB_SC_Lm4ESE_iEESI_SC_Lm5ESE_iEESJ_iiiiiiiii.has_dyn_sized_stack, 0
	.set _ZN2at6native12_GLOBAL__N_143conv_depthwise3d_cuda_backward_input_kernelIN3c104HalfEfLi3ELi3ELi3ELin1ELin1ELin1ELin1ELin1ELin1EEEvN5torch10headeronly6detail27GenericPackedTensorAccessorINS7_14TensorAccessorINS3_8ArrayRefIlEEKT_Lm4ENS6_16DefaultPtrTraitsEiEENS_6detail16IndexBoundsCheckILm5EiEESD_Lm5ESE_iEENS8_INS9_ISB_SC_Lm4ESE_iEESI_SC_Lm5ESE_iEESJ_iiiiiiiii.has_recursion, 0
	.set _ZN2at6native12_GLOBAL__N_143conv_depthwise3d_cuda_backward_input_kernelIN3c104HalfEfLi3ELi3ELi3ELin1ELin1ELin1ELin1ELin1ELin1EEEvN5torch10headeronly6detail27GenericPackedTensorAccessorINS7_14TensorAccessorINS3_8ArrayRefIlEEKT_Lm4ENS6_16DefaultPtrTraitsEiEENS_6detail16IndexBoundsCheckILm5EiEESD_Lm5ESE_iEENS8_INS9_ISB_SC_Lm4ESE_iEESI_SC_Lm5ESE_iEESJ_iiiiiiiii.has_indirect_call, 0
	.section	.AMDGPU.csdata,"",@progbits
; Kernel info:
; codeLenInByte = 6256
; TotalNumSgprs: 107
; NumVgprs: 128
; ScratchSize: 24
; MemoryBound: 0
; FloatMode: 240
; IeeeMode: 1
; LDSByteSize: 0 bytes/workgroup (compile time only)
; SGPRBlocks: 0
; VGPRBlocks: 15
; NumSGPRsForWavesPerEU: 107
; NumVGPRsForWavesPerEU: 128
; Occupancy: 8
; WaveLimiterHint : 0
; COMPUTE_PGM_RSRC2:SCRATCH_EN: 1
; COMPUTE_PGM_RSRC2:USER_SGPR: 6
; COMPUTE_PGM_RSRC2:TRAP_HANDLER: 0
; COMPUTE_PGM_RSRC2:TGID_X_EN: 1
; COMPUTE_PGM_RSRC2:TGID_Y_EN: 0
; COMPUTE_PGM_RSRC2:TGID_Z_EN: 0
; COMPUTE_PGM_RSRC2:TIDIG_COMP_CNT: 0
	.section	.text._ZN2at6native12_GLOBAL__N_143conv_depthwise3d_cuda_backward_input_kernelIN3c104HalfEfLin1ELin1ELin1ELin1ELin1ELin1ELin1ELin1ELin1EEEvN5torch10headeronly6detail27GenericPackedTensorAccessorINS7_14TensorAccessorINS3_8ArrayRefIlEEKT_Lm4ENS6_16DefaultPtrTraitsEiEENS_6detail16IndexBoundsCheckILm5EiEESD_Lm5ESE_iEENS8_INS9_ISB_SC_Lm4ESE_iEESI_SC_Lm5ESE_iEESJ_iiiiiiiii,"axG",@progbits,_ZN2at6native12_GLOBAL__N_143conv_depthwise3d_cuda_backward_input_kernelIN3c104HalfEfLin1ELin1ELin1ELin1ELin1ELin1ELin1ELin1ELin1EEEvN5torch10headeronly6detail27GenericPackedTensorAccessorINS7_14TensorAccessorINS3_8ArrayRefIlEEKT_Lm4ENS6_16DefaultPtrTraitsEiEENS_6detail16IndexBoundsCheckILm5EiEESD_Lm5ESE_iEENS8_INS9_ISB_SC_Lm4ESE_iEESI_SC_Lm5ESE_iEESJ_iiiiiiiii,comdat
	.globl	_ZN2at6native12_GLOBAL__N_143conv_depthwise3d_cuda_backward_input_kernelIN3c104HalfEfLin1ELin1ELin1ELin1ELin1ELin1ELin1ELin1ELin1EEEvN5torch10headeronly6detail27GenericPackedTensorAccessorINS7_14TensorAccessorINS3_8ArrayRefIlEEKT_Lm4ENS6_16DefaultPtrTraitsEiEENS_6detail16IndexBoundsCheckILm5EiEESD_Lm5ESE_iEENS8_INS9_ISB_SC_Lm4ESE_iEESI_SC_Lm5ESE_iEESJ_iiiiiiiii ; -- Begin function _ZN2at6native12_GLOBAL__N_143conv_depthwise3d_cuda_backward_input_kernelIN3c104HalfEfLin1ELin1ELin1ELin1ELin1ELin1ELin1ELin1ELin1EEEvN5torch10headeronly6detail27GenericPackedTensorAccessorINS7_14TensorAccessorINS3_8ArrayRefIlEEKT_Lm4ENS6_16DefaultPtrTraitsEiEENS_6detail16IndexBoundsCheckILm5EiEESD_Lm5ESE_iEENS8_INS9_ISB_SC_Lm4ESE_iEESI_SC_Lm5ESE_iEESJ_iiiiiiiii
	.p2align	8
	.type	_ZN2at6native12_GLOBAL__N_143conv_depthwise3d_cuda_backward_input_kernelIN3c104HalfEfLin1ELin1ELin1ELin1ELin1ELin1ELin1ELin1ELin1EEEvN5torch10headeronly6detail27GenericPackedTensorAccessorINS7_14TensorAccessorINS3_8ArrayRefIlEEKT_Lm4ENS6_16DefaultPtrTraitsEiEENS_6detail16IndexBoundsCheckILm5EiEESD_Lm5ESE_iEENS8_INS9_ISB_SC_Lm4ESE_iEESI_SC_Lm5ESE_iEESJ_iiiiiiiii,@function
_ZN2at6native12_GLOBAL__N_143conv_depthwise3d_cuda_backward_input_kernelIN3c104HalfEfLin1ELin1ELin1ELin1ELin1ELin1ELin1ELin1ELin1EEEvN5torch10headeronly6detail27GenericPackedTensorAccessorINS7_14TensorAccessorINS3_8ArrayRefIlEEKT_Lm4ENS6_16DefaultPtrTraitsEiEENS_6detail16IndexBoundsCheckILm5EiEESD_Lm5ESE_iEENS8_INS9_ISB_SC_Lm4ESE_iEESI_SC_Lm5ESE_iEESJ_iiiiiiiii: ; @_ZN2at6native12_GLOBAL__N_143conv_depthwise3d_cuda_backward_input_kernelIN3c104HalfEfLin1ELin1ELin1ELin1ELin1ELin1ELin1ELin1ELin1EEEvN5torch10headeronly6detail27GenericPackedTensorAccessorINS7_14TensorAccessorINS3_8ArrayRefIlEEKT_Lm4ENS6_16DefaultPtrTraitsEiEENS_6detail16IndexBoundsCheckILm5EiEESD_Lm5ESE_iEENS8_INS9_ISB_SC_Lm4ESE_iEESI_SC_Lm5ESE_iEESJ_iiiiiiiii
; %bb.0:
	s_clause 0x2
	s_load_dwordx4 s[16:19], s[4:5], 0x38
	s_load_dword s2, s[4:5], 0xc4
	s_load_dwordx2 s[34:35], s[4:5], 0x48
	s_mov_b32 s8, exec_lo
	s_waitcnt lgkmcnt(0)
	s_abs_i32 s33, s17
	s_add_u32 s0, s4, 0xb8
	v_cvt_f32_u32_e32 v1, s33
	s_addc_u32 s1, s5, 0
	s_and_b32 s2, s2, 0xffff
	v_rcp_iflag_f32_e32 v2, v1
	v_mov_b32_e32 v1, 0
	v_mad_u64_u32 v[0:1], null, s2, s6, v[0:1]
	s_mul_i32 s6, s35, s16
	s_ashr_i32 s7, s6, 31
	v_mul_f32_e32 v2, 0x4f7ffffe, v2
	v_cvt_u32_f32_e32 v2, v2
	v_readfirstlane_b32 s3, v2
	v_cmpx_gt_i64_e64 s[6:7], v[0:1]
	s_cbranch_execz .LBB26_19
; %bb.1:
	s_clause 0x1
	s_load_dwordx4 s[20:23], s[4:5], 0xc
	s_load_dwordx2 s[36:37], s[4:5], 0x0
	s_sub_i32 s28, 0, s33
	s_load_dwordx4 s[24:27], s[4:5], 0x70
	s_mul_i32 s8, s28, s3
	s_ashr_i32 s16, s17, 31
	s_mul_hi_u32 s8, s3, s8
	s_load_dword s0, s[0:1], 0x0
	s_add_i32 s3, s3, s8
	v_mul_lo_u32 v3, s28, v2
	s_clause 0x1
	s_load_dwordx2 s[38:39], s[4:5], 0x1c
	s_load_dwordx2 s[40:41], s[4:5], 0x30
	s_mov_b32 s44, 0
	v_mul_hi_u32 v3, v2, v3
	s_waitcnt lgkmcnt(0)
	s_abs_i32 s8, s20
	s_ashr_i32 s9, s20, 31
	s_mul_hi_u32 s3, s8, s3
	s_xor_b32 s29, s9, s16
	s_mul_i32 s10, s3, s33
	s_add_i32 s27, s3, 1
	s_sub_i32 s20, s8, s10
	s_load_dwordx8 s[8:15], s[4:5], 0x90
	s_sub_i32 s30, s20, s33
	s_cmp_ge_u32 s20, s33
	s_cselect_b32 s3, s27, s3
	s_cselect_b32 s20, s30, s20
	s_add_i32 s27, s3, 1
	s_cmp_ge_u32 s20, s33
	s_load_dword s20, s[4:5], 0xb0
	s_cselect_b32 s3, s27, s3
	s_load_dword s27, s[4:5], 0x7c
	s_xor_b32 s1, s3, s29
	s_sub_i32 s45, s1, s29
	s_cmp_gt_i32 s24, 0
	s_clause 0x1
	s_load_dwordx2 s[42:43], s[4:5], 0x60
	s_load_dwordx4 s[28:31], s[4:5], 0x50
	s_cselect_b32 s46, -1, 0
	s_cmp_gt_i32 s25, 0
	s_cselect_b32 s47, -1, 0
	s_cmp_gt_i32 s26, 0
	;; [unrolled: 2-line block ×3, first 2 shown]
	s_cselect_b32 s49, -1, 0
	s_abs_i32 s50, s34
	s_abs_i32 s51, s19
	v_cvt_f32_u32_e32 v4, s50
	s_abs_i32 s52, s18
	s_waitcnt lgkmcnt(0)
	s_abs_i32 s53, s8
	s_abs_i32 s54, s9
	;; [unrolled: 1-line block ×3, first 2 shown]
	v_rcp_iflag_f32_e32 v4, v4
	v_cvt_f32_u32_e32 v5, s51
	v_cvt_f32_u32_e32 v6, s52
	v_cvt_f32_u32_e32 v7, s53
	v_cvt_f32_u32_e32 v8, s54
	v_cvt_f32_u32_e32 v9, s55
	v_rcp_iflag_f32_e32 v5, v5
	v_rcp_iflag_f32_e32 v6, v6
	;; [unrolled: 1-line block ×5, first 2 shown]
	v_mul_f32_e32 v4, 0x4f7ffffe, v4
	s_sub_i32 s1, 0, s50
	s_sub_i32 s3, 0, s51
	;; [unrolled: 1-line block ×4, first 2 shown]
	v_cvt_u32_f32_e32 v4, v4
	v_mul_f32_e32 v5, 0x4f7ffffe, v5
	v_mul_f32_e32 v6, 0x4f7ffffe, v6
	;; [unrolled: 1-line block ×5, first 2 shown]
	v_mul_lo_u32 v10, s1, v4
	v_cvt_u32_f32_e32 v5, v5
	v_cvt_u32_f32_e32 v6, v6
	;; [unrolled: 1-line block ×5, first 2 shown]
	s_sub_i32 s56, 0, s54
	s_sub_i32 s57, 0, s55
	v_mul_lo_u32 v7, s3, v5
	v_mul_lo_u32 v8, s4, v6
	;; [unrolled: 1-line block ×4, first 2 shown]
	v_mul_hi_u32 v10, v4, v10
	v_mul_lo_u32 v15, s57, v13
	s_mul_i32 s56, s0, s2
	s_ashr_i32 s57, s34, 31
	v_mul_hi_u32 v7, v5, v7
	v_mul_hi_u32 v8, v6, v8
	;; [unrolled: 1-line block ×4, first 2 shown]
	v_add_nc_u32_e32 v4, v4, v10
	v_mul_hi_u32 v10, v13, v15
	s_ashr_i32 s58, s19, 31
	s_ashr_i32 s59, s18, 31
	v_add_nc_u32_e32 v5, v5, v7
	v_add_nc_u32_e32 v6, v6, v8
	;; [unrolled: 1-line block ×6, first 2 shown]
	s_ashr_i32 s60, s8, 31
	s_ashr_i32 s61, s9, 31
	;; [unrolled: 1-line block ×3, first 2 shown]
	s_branch .LBB26_4
.LBB26_2:                               ;   in Loop: Header=BB26_4 Depth=1
	s_or_b32 exec_lo, exec_lo, s63
	v_cvt_f16_f32_e32 v2, v23
.LBB26_3:                               ;   in Loop: Header=BB26_4 Depth=1
	v_mul_lo_u32 v14, v14, s35
	v_mul_lo_u32 v16, s28, v15
	;; [unrolled: 1-line block ×4, first 2 shown]
	v_add_co_u32 v0, vcc_lo, v0, s56
	v_add_co_ci_u32_e64 v1, null, 0, v1, vcc_lo
	v_ashrrev_i32_e32 v15, 31, v14
	v_ashrrev_i32_e32 v17, 31, v16
	v_mul_lo_u32 v11, s31, v11
	v_ashrrev_i32_e32 v19, 31, v18
	v_lshlrev_b64 v[20:21], 1, v[14:15]
	v_ashrrev_i32_e32 v14, 31, v13
	v_lshlrev_b64 v[15:16], 1, v[16:17]
	v_ashrrev_i32_e32 v12, 31, v11
	v_add_co_u32 v3, vcc_lo, s40, v20
	v_add_co_ci_u32_e64 v17, null, s41, v21, vcc_lo
	v_lshlrev_b64 v[13:14], 1, v[13:14]
	v_add_co_u32 v3, vcc_lo, v3, v15
	v_add_co_ci_u32_e64 v17, null, v17, v16, vcc_lo
	v_lshlrev_b64 v[15:16], 1, v[18:19]
	;; [unrolled: 3-line block ×3, first 2 shown]
	v_add_co_u32 v3, vcc_lo, v3, v15
	v_add_co_ci_u32_e64 v13, null, v13, v16, vcc_lo
	v_cmp_le_i64_e32 vcc_lo, s[6:7], v[0:1]
	v_add_co_u32 v11, s0, v3, v11
	v_add_co_ci_u32_e64 v12, null, v13, v12, s0
	s_or_b32 s44, vcc_lo, s44
	global_store_short v[11:12], v2, off
	s_andn2_b32 exec_lo, exec_lo, s44
	s_cbranch_execz .LBB26_19
.LBB26_4:                               ; =>This Loop Header: Depth=1
                                        ;     Child Loop BB26_7 Depth 2
                                        ;       Child Loop BB26_10 Depth 3
                                        ;         Child Loop BB26_13 Depth 4
                                        ;           Child Loop BB26_16 Depth 5
	v_sub_nc_u32_e32 v2, 0, v0
	v_max_i32_e32 v2, v0, v2
	v_mul_hi_u32 v3, v2, v4
	v_mul_lo_u32 v11, v3, s50
	v_sub_nc_u32_e32 v2, v2, v11
	v_add_nc_u32_e32 v11, 1, v3
	v_subrev_nc_u32_e32 v12, s50, v2
	v_cmp_le_u32_e32 vcc_lo, s50, v2
	v_cndmask_b32_e32 v3, v3, v11, vcc_lo
	v_cndmask_b32_e32 v2, v2, v12, vcc_lo
	v_ashrrev_i32_e32 v11, 31, v0
	v_add_nc_u32_e32 v12, 1, v3
	v_cmp_le_u32_e32 vcc_lo, s50, v2
	v_xor_b32_e32 v11, s57, v11
	v_cndmask_b32_e32 v2, v3, v12, vcc_lo
	v_xor_b32_e32 v2, v2, v11
	v_sub_nc_u32_e32 v2, v2, v11
	v_sub_nc_u32_e32 v3, 0, v2
	v_max_i32_e32 v3, v2, v3
	v_mul_hi_u32 v11, v3, v5
	v_mul_lo_u32 v12, v11, s51
	v_sub_nc_u32_e32 v3, v3, v12
	v_add_nc_u32_e32 v12, 1, v11
	v_subrev_nc_u32_e32 v13, s51, v3
	v_cmp_le_u32_e32 vcc_lo, s51, v3
	v_cndmask_b32_e32 v11, v11, v12, vcc_lo
	v_cndmask_b32_e32 v3, v3, v13, vcc_lo
	v_ashrrev_i32_e32 v12, 31, v2
	v_add_nc_u32_e32 v13, 1, v11
	v_cmp_le_u32_e32 vcc_lo, s51, v3
	v_xor_b32_e32 v12, s58, v12
	v_cndmask_b32_e32 v3, v11, v13, vcc_lo
	v_xor_b32_e32 v3, v3, v12
	v_sub_nc_u32_e32 v3, v3, v12
	;; [unrolled: 17-line block ×3, first 2 shown]
	v_sub_nc_u32_e32 v11, 0, v15
	v_max_i32_e32 v11, v15, v11
	v_mul_hi_u32 v12, v11, v7
	v_mul_lo_u32 v13, v12, s33
	v_sub_nc_u32_e32 v11, v11, v13
	v_add_nc_u32_e32 v13, 1, v12
	v_subrev_nc_u32_e32 v14, s33, v11
	v_cmp_le_u32_e32 vcc_lo, s33, v11
	v_cndmask_b32_e32 v12, v12, v13, vcc_lo
	v_cndmask_b32_e32 v11, v11, v14, vcc_lo
	v_ashrrev_i32_e32 v13, 31, v15
	v_add_nc_u32_e32 v14, 1, v12
	v_cmp_le_u32_e32 vcc_lo, s33, v11
	v_xor_b32_e32 v13, s16, v13
	v_cndmask_b32_e32 v11, v12, v14, vcc_lo
	v_mul_lo_u32 v12, v3, s19
	s_andn2_b32 vcc_lo, exec_lo, s49
	v_xor_b32_e32 v11, v11, v13
	v_sub_nc_u32_e32 v12, v2, v12
	v_sub_nc_u32_e32 v14, v11, v13
	v_mul_lo_u32 v11, v2, s34
	v_mul_lo_u32 v13, v15, s18
	;; [unrolled: 1-line block ×3, first 2 shown]
	v_sub_nc_u32_e32 v11, v0, v11
	v_sub_nc_u32_e32 v13, v3, v13
	;; [unrolled: 1-line block ×3, first 2 shown]
	s_cbranch_vccnz .LBB26_18
; %bb.5:                                ;   in Loop: Header=BB26_4 Depth=1
	v_mul_lo_u32 v16, v15, s45
	v_mul_lo_u32 v2, s38, v14
	v_add_nc_u32_e32 v17, s13, v11
	v_add_nc_u32_e32 v18, s12, v12
	;; [unrolled: 1-line block ×3, first 2 shown]
	s_mov_b32 s63, 0
	v_mul_lo_u32 v21, s27, v16
	v_ashrrev_i32_e32 v3, 31, v2
	v_add_nc_u32_e32 v20, s45, v16
	v_lshlrev_b64 v[2:3], 1, v[2:3]
	v_ashrrev_i32_e32 v22, 31, v21
	v_lshlrev_b64 v[23:24], 1, v[21:22]
	v_add_co_u32 v21, vcc_lo, s36, v2
	v_add_co_ci_u32_e64 v22, null, s37, v3, vcc_lo
	v_add_co_u32 v2, vcc_lo, s42, v23
	v_add_co_ci_u32_e64 v3, null, s43, v24, vcc_lo
	v_mov_b32_e32 v23, 0
	s_branch .LBB26_7
.LBB26_6:                               ;   in Loop: Header=BB26_7 Depth=2
	v_add_nc_u32_e32 v16, 1, v16
	v_cmp_ge_i32_e32 vcc_lo, v16, v20
	s_or_b32 s63, vcc_lo, s63
	s_andn2_b32 exec_lo, exec_lo, s63
	s_cbranch_execz .LBB26_2
.LBB26_7:                               ;   Parent Loop BB26_4 Depth=1
                                        ; =>  This Loop Header: Depth=2
                                        ;       Child Loop BB26_10 Depth 3
                                        ;         Child Loop BB26_13 Depth 4
                                        ;           Child Loop BB26_16 Depth 5
	s_andn2_b32 vcc_lo, exec_lo, s46
	s_cbranch_vccnz .LBB26_6
; %bb.8:                                ;   in Loop: Header=BB26_7 Depth=2
	v_mul_lo_u32 v24, s39, v16
	s_mov_b32 s64, 0
	v_ashrrev_i32_e32 v25, 31, v24
	v_lshlrev_b64 v[24:25], 1, v[24:25]
	v_add_co_u32 v24, vcc_lo, v21, v24
	v_add_co_ci_u32_e64 v25, null, v22, v25, vcc_lo
	s_branch .LBB26_10
.LBB26_9:                               ;   in Loop: Header=BB26_10 Depth=3
	s_add_i32 s64, s64, 1
	s_cmp_eq_u32 s64, s24
	s_cbranch_scc1 .LBB26_6
.LBB26_10:                              ;   Parent Loop BB26_4 Depth=1
                                        ;     Parent Loop BB26_7 Depth=2
                                        ; =>    This Loop Header: Depth=3
                                        ;         Child Loop BB26_13 Depth 4
                                        ;           Child Loop BB26_16 Depth 5
	s_andn2_b32 vcc_lo, exec_lo, s47
	s_cbranch_vccnz .LBB26_9
; %bb.11:                               ;   in Loop: Header=BB26_10 Depth=3
	s_mul_i32 s0, s14, s64
	s_mov_b32 s65, 0
	v_subrev_nc_u32_e32 v27, s0, v19
	v_sub_nc_u32_e32 v26, 0, v27
	v_max_i32_e32 v26, v27, v26
	v_mul_hi_u32 v28, v26, v8
	v_mul_lo_u32 v29, v28, s53
	v_sub_nc_u32_e32 v26, v26, v29
	v_add_nc_u32_e32 v29, 1, v28
	v_subrev_nc_u32_e32 v30, s53, v26
	v_cmp_le_u32_e32 vcc_lo, s53, v26
	v_cndmask_b32_e32 v28, v28, v29, vcc_lo
	v_cndmask_b32_e32 v26, v26, v30, vcc_lo
	v_ashrrev_i32_e32 v29, 31, v27
	v_add_nc_u32_e32 v30, 1, v28
	v_cmp_le_u32_e32 vcc_lo, s53, v26
	v_xor_b32_e32 v29, s60, v29
	v_cndmask_b32_e32 v26, v28, v30, vcc_lo
	v_xor_b32_e32 v26, v26, v29
	v_sub_nc_u32_e32 v28, v26, v29
	v_mul_lo_u32 v29, v28, s8
	v_mul_lo_u32 v26, v28, s22
	v_cmp_lt_i32_e64 s0, -1, v28
	v_cmp_gt_i32_e64 s1, s21, v28
	v_cmp_eq_u32_e64 s2, v29, v27
	s_branch .LBB26_13
.LBB26_12:                              ;   in Loop: Header=BB26_13 Depth=4
	s_add_i32 s65, s65, 1
	s_cmp_eq_u32 s65, s25
	s_cbranch_scc1 .LBB26_9
.LBB26_13:                              ;   Parent Loop BB26_4 Depth=1
                                        ;     Parent Loop BB26_7 Depth=2
                                        ;       Parent Loop BB26_10 Depth=3
                                        ; =>      This Loop Header: Depth=4
                                        ;           Child Loop BB26_16 Depth 5
	s_andn2_b32 vcc_lo, exec_lo, s48
	s_cbranch_vccnz .LBB26_12
; %bb.14:                               ;   in Loop: Header=BB26_13 Depth=4
	s_mul_i32 s3, s15, s65
	s_mov_b32 s67, s26
	v_subrev_nc_u32_e32 v28, s3, v18
	v_sub_nc_u32_e32 v27, 0, v28
	v_max_i32_e32 v27, v28, v27
	v_mul_hi_u32 v29, v27, v9
	v_mul_lo_u32 v30, v29, s54
	v_sub_nc_u32_e32 v27, v27, v30
	v_add_nc_u32_e32 v30, 1, v29
	v_subrev_nc_u32_e32 v31, s54, v27
	v_cmp_le_u32_e32 vcc_lo, s54, v27
	v_cndmask_b32_e32 v29, v29, v30, vcc_lo
	v_cndmask_b32_e32 v27, v27, v31, vcc_lo
	v_ashrrev_i32_e32 v30, 31, v28
	v_add_nc_u32_e32 v31, 1, v29
	v_cmp_le_u32_e32 vcc_lo, s54, v27
	v_xor_b32_e32 v30, s61, v30
	v_cndmask_b32_e32 v27, v29, v31, vcc_lo
	v_xor_b32_e32 v27, v27, v30
	v_sub_nc_u32_e32 v29, v27, v30
	v_mul_lo_u32 v30, v29, s9
	v_add_nc_u32_e32 v27, v29, v26
	v_cmp_gt_i32_e64 s3, s22, v29
	v_cmp_lt_i32_e32 vcc_lo, -1, v29
	v_mul_lo_u32 v27, v27, s23
	v_cmp_eq_u32_e64 s4, v30, v28
	v_mov_b32_e32 v28, v17
	s_and_b32 s66, s2, s4
	s_branch .LBB26_16
.LBB26_15:                              ;   in Loop: Header=BB26_16 Depth=5
	s_or_b32 exec_lo, exec_lo, s5
	v_mul_lo_u32 v30, v30, s10
	s_waitcnt vmcnt(0)
	v_fma_mix_f32 v29, v31, v29, v23 op_sel_hi:[0,1,0]
	v_add_co_u32 v2, s5, v2, 2
	v_add_co_ci_u32_e64 v3, null, 0, v3, s5
	s_add_i32 s67, s67, -1
	v_cmp_eq_u32_e64 s4, v28, v30
	v_subrev_nc_u32_e32 v28, s20, v28
	s_and_b32 s4, s66, s4
	s_cmp_eq_u32 s67, 0
	v_cndmask_b32_e64 v23, v23, v29, s4
	s_cbranch_scc1 .LBB26_12
.LBB26_16:                              ;   Parent Loop BB26_4 Depth=1
                                        ;     Parent Loop BB26_7 Depth=2
                                        ;       Parent Loop BB26_10 Depth=3
                                        ;         Parent Loop BB26_13 Depth=4
                                        ; =>        This Inner Loop Header: Depth=5
	global_load_ushort v29, v[2:3], off
	v_sub_nc_u32_e32 v30, 0, v28
	v_max_i32_e32 v30, v28, v30
	v_mul_hi_u32 v31, v30, v10
	v_mul_lo_u32 v32, v31, s55
	v_sub_nc_u32_e32 v30, v30, v32
	v_add_nc_u32_e32 v32, 1, v31
	v_subrev_nc_u32_e32 v33, s55, v30
	v_cmp_le_u32_e64 s4, s55, v30
	v_cndmask_b32_e64 v31, v31, v32, s4
	v_cndmask_b32_e64 v30, v30, v33, s4
	v_ashrrev_i32_e32 v32, 31, v28
	v_add_nc_u32_e32 v33, 1, v31
	v_cmp_le_u32_e64 s4, s55, v30
	v_xor_b32_e32 v32, s62, v32
	v_cndmask_b32_e64 v30, v31, v33, s4
	v_mov_b32_e32 v31, 0
	v_xor_b32_e32 v30, v30, v32
	v_sub_nc_u32_e32 v30, v30, v32
	v_cmp_lt_i32_e64 s4, -1, v30
	v_cmp_gt_i32_e64 s5, s23, v30
	s_and_b32 s4, s4, vcc_lo
	s_and_b32 s4, s4, s0
	s_and_b32 s4, s5, s4
	;; [unrolled: 1-line block ×4, first 2 shown]
	s_and_saveexec_b32 s5, s4
	s_cbranch_execz .LBB26_15
; %bb.17:                               ;   in Loop: Header=BB26_16 Depth=5
	v_add_nc_u32_e32 v31, v30, v27
	v_ashrrev_i32_e32 v32, 31, v31
	v_lshlrev_b64 v[31:32], 1, v[31:32]
	v_add_co_u32 v31, s4, v24, v31
	v_add_co_ci_u32_e64 v32, null, v25, v32, s4
	global_load_ushort v31, v[31:32], off
	s_waitcnt vmcnt(0)
	v_cvt_f32_f16_e32 v31, v31
	s_branch .LBB26_15
.LBB26_18:                              ;   in Loop: Header=BB26_4 Depth=1
	v_mov_b32_e32 v2, 0
	s_branch .LBB26_3
.LBB26_19:
	s_endpgm
	.section	.rodata,"a",@progbits
	.p2align	6, 0x0
	.amdhsa_kernel _ZN2at6native12_GLOBAL__N_143conv_depthwise3d_cuda_backward_input_kernelIN3c104HalfEfLin1ELin1ELin1ELin1ELin1ELin1ELin1ELin1ELin1EEEvN5torch10headeronly6detail27GenericPackedTensorAccessorINS7_14TensorAccessorINS3_8ArrayRefIlEEKT_Lm4ENS6_16DefaultPtrTraitsEiEENS_6detail16IndexBoundsCheckILm5EiEESD_Lm5ESE_iEENS8_INS9_ISB_SC_Lm4ESE_iEESI_SC_Lm5ESE_iEESJ_iiiiiiiii
		.amdhsa_group_segment_fixed_size 0
		.amdhsa_private_segment_fixed_size 0
		.amdhsa_kernarg_size 440
		.amdhsa_user_sgpr_count 6
		.amdhsa_user_sgpr_private_segment_buffer 1
		.amdhsa_user_sgpr_dispatch_ptr 0
		.amdhsa_user_sgpr_queue_ptr 0
		.amdhsa_user_sgpr_kernarg_segment_ptr 1
		.amdhsa_user_sgpr_dispatch_id 0
		.amdhsa_user_sgpr_flat_scratch_init 0
		.amdhsa_user_sgpr_private_segment_size 0
		.amdhsa_wavefront_size32 1
		.amdhsa_uses_dynamic_stack 0
		.amdhsa_system_sgpr_private_segment_wavefront_offset 0
		.amdhsa_system_sgpr_workgroup_id_x 1
		.amdhsa_system_sgpr_workgroup_id_y 0
		.amdhsa_system_sgpr_workgroup_id_z 0
		.amdhsa_system_sgpr_workgroup_info 0
		.amdhsa_system_vgpr_workitem_id 0
		.amdhsa_next_free_vgpr 34
		.amdhsa_next_free_sgpr 68
		.amdhsa_reserve_vcc 1
		.amdhsa_reserve_flat_scratch 0
		.amdhsa_float_round_mode_32 0
		.amdhsa_float_round_mode_16_64 0
		.amdhsa_float_denorm_mode_32 3
		.amdhsa_float_denorm_mode_16_64 3
		.amdhsa_dx10_clamp 1
		.amdhsa_ieee_mode 1
		.amdhsa_fp16_overflow 0
		.amdhsa_workgroup_processor_mode 1
		.amdhsa_memory_ordered 1
		.amdhsa_forward_progress 1
		.amdhsa_shared_vgpr_count 0
		.amdhsa_exception_fp_ieee_invalid_op 0
		.amdhsa_exception_fp_denorm_src 0
		.amdhsa_exception_fp_ieee_div_zero 0
		.amdhsa_exception_fp_ieee_overflow 0
		.amdhsa_exception_fp_ieee_underflow 0
		.amdhsa_exception_fp_ieee_inexact 0
		.amdhsa_exception_int_div_zero 0
	.end_amdhsa_kernel
	.section	.text._ZN2at6native12_GLOBAL__N_143conv_depthwise3d_cuda_backward_input_kernelIN3c104HalfEfLin1ELin1ELin1ELin1ELin1ELin1ELin1ELin1ELin1EEEvN5torch10headeronly6detail27GenericPackedTensorAccessorINS7_14TensorAccessorINS3_8ArrayRefIlEEKT_Lm4ENS6_16DefaultPtrTraitsEiEENS_6detail16IndexBoundsCheckILm5EiEESD_Lm5ESE_iEENS8_INS9_ISB_SC_Lm4ESE_iEESI_SC_Lm5ESE_iEESJ_iiiiiiiii,"axG",@progbits,_ZN2at6native12_GLOBAL__N_143conv_depthwise3d_cuda_backward_input_kernelIN3c104HalfEfLin1ELin1ELin1ELin1ELin1ELin1ELin1ELin1ELin1EEEvN5torch10headeronly6detail27GenericPackedTensorAccessorINS7_14TensorAccessorINS3_8ArrayRefIlEEKT_Lm4ENS6_16DefaultPtrTraitsEiEENS_6detail16IndexBoundsCheckILm5EiEESD_Lm5ESE_iEENS8_INS9_ISB_SC_Lm4ESE_iEESI_SC_Lm5ESE_iEESJ_iiiiiiiii,comdat
.Lfunc_end26:
	.size	_ZN2at6native12_GLOBAL__N_143conv_depthwise3d_cuda_backward_input_kernelIN3c104HalfEfLin1ELin1ELin1ELin1ELin1ELin1ELin1ELin1ELin1EEEvN5torch10headeronly6detail27GenericPackedTensorAccessorINS7_14TensorAccessorINS3_8ArrayRefIlEEKT_Lm4ENS6_16DefaultPtrTraitsEiEENS_6detail16IndexBoundsCheckILm5EiEESD_Lm5ESE_iEENS8_INS9_ISB_SC_Lm4ESE_iEESI_SC_Lm5ESE_iEESJ_iiiiiiiii, .Lfunc_end26-_ZN2at6native12_GLOBAL__N_143conv_depthwise3d_cuda_backward_input_kernelIN3c104HalfEfLin1ELin1ELin1ELin1ELin1ELin1ELin1ELin1ELin1EEEvN5torch10headeronly6detail27GenericPackedTensorAccessorINS7_14TensorAccessorINS3_8ArrayRefIlEEKT_Lm4ENS6_16DefaultPtrTraitsEiEENS_6detail16IndexBoundsCheckILm5EiEESD_Lm5ESE_iEENS8_INS9_ISB_SC_Lm4ESE_iEESI_SC_Lm5ESE_iEESJ_iiiiiiiii
                                        ; -- End function
	.set _ZN2at6native12_GLOBAL__N_143conv_depthwise3d_cuda_backward_input_kernelIN3c104HalfEfLin1ELin1ELin1ELin1ELin1ELin1ELin1ELin1ELin1EEEvN5torch10headeronly6detail27GenericPackedTensorAccessorINS7_14TensorAccessorINS3_8ArrayRefIlEEKT_Lm4ENS6_16DefaultPtrTraitsEiEENS_6detail16IndexBoundsCheckILm5EiEESD_Lm5ESE_iEENS8_INS9_ISB_SC_Lm4ESE_iEESI_SC_Lm5ESE_iEESJ_iiiiiiiii.num_vgpr, 34
	.set _ZN2at6native12_GLOBAL__N_143conv_depthwise3d_cuda_backward_input_kernelIN3c104HalfEfLin1ELin1ELin1ELin1ELin1ELin1ELin1ELin1ELin1EEEvN5torch10headeronly6detail27GenericPackedTensorAccessorINS7_14TensorAccessorINS3_8ArrayRefIlEEKT_Lm4ENS6_16DefaultPtrTraitsEiEENS_6detail16IndexBoundsCheckILm5EiEESD_Lm5ESE_iEENS8_INS9_ISB_SC_Lm4ESE_iEESI_SC_Lm5ESE_iEESJ_iiiiiiiii.num_agpr, 0
	.set _ZN2at6native12_GLOBAL__N_143conv_depthwise3d_cuda_backward_input_kernelIN3c104HalfEfLin1ELin1ELin1ELin1ELin1ELin1ELin1ELin1ELin1EEEvN5torch10headeronly6detail27GenericPackedTensorAccessorINS7_14TensorAccessorINS3_8ArrayRefIlEEKT_Lm4ENS6_16DefaultPtrTraitsEiEENS_6detail16IndexBoundsCheckILm5EiEESD_Lm5ESE_iEENS8_INS9_ISB_SC_Lm4ESE_iEESI_SC_Lm5ESE_iEESJ_iiiiiiiii.numbered_sgpr, 68
	.set _ZN2at6native12_GLOBAL__N_143conv_depthwise3d_cuda_backward_input_kernelIN3c104HalfEfLin1ELin1ELin1ELin1ELin1ELin1ELin1ELin1ELin1EEEvN5torch10headeronly6detail27GenericPackedTensorAccessorINS7_14TensorAccessorINS3_8ArrayRefIlEEKT_Lm4ENS6_16DefaultPtrTraitsEiEENS_6detail16IndexBoundsCheckILm5EiEESD_Lm5ESE_iEENS8_INS9_ISB_SC_Lm4ESE_iEESI_SC_Lm5ESE_iEESJ_iiiiiiiii.num_named_barrier, 0
	.set _ZN2at6native12_GLOBAL__N_143conv_depthwise3d_cuda_backward_input_kernelIN3c104HalfEfLin1ELin1ELin1ELin1ELin1ELin1ELin1ELin1ELin1EEEvN5torch10headeronly6detail27GenericPackedTensorAccessorINS7_14TensorAccessorINS3_8ArrayRefIlEEKT_Lm4ENS6_16DefaultPtrTraitsEiEENS_6detail16IndexBoundsCheckILm5EiEESD_Lm5ESE_iEENS8_INS9_ISB_SC_Lm4ESE_iEESI_SC_Lm5ESE_iEESJ_iiiiiiiii.private_seg_size, 0
	.set _ZN2at6native12_GLOBAL__N_143conv_depthwise3d_cuda_backward_input_kernelIN3c104HalfEfLin1ELin1ELin1ELin1ELin1ELin1ELin1ELin1ELin1EEEvN5torch10headeronly6detail27GenericPackedTensorAccessorINS7_14TensorAccessorINS3_8ArrayRefIlEEKT_Lm4ENS6_16DefaultPtrTraitsEiEENS_6detail16IndexBoundsCheckILm5EiEESD_Lm5ESE_iEENS8_INS9_ISB_SC_Lm4ESE_iEESI_SC_Lm5ESE_iEESJ_iiiiiiiii.uses_vcc, 1
	.set _ZN2at6native12_GLOBAL__N_143conv_depthwise3d_cuda_backward_input_kernelIN3c104HalfEfLin1ELin1ELin1ELin1ELin1ELin1ELin1ELin1ELin1EEEvN5torch10headeronly6detail27GenericPackedTensorAccessorINS7_14TensorAccessorINS3_8ArrayRefIlEEKT_Lm4ENS6_16DefaultPtrTraitsEiEENS_6detail16IndexBoundsCheckILm5EiEESD_Lm5ESE_iEENS8_INS9_ISB_SC_Lm4ESE_iEESI_SC_Lm5ESE_iEESJ_iiiiiiiii.uses_flat_scratch, 0
	.set _ZN2at6native12_GLOBAL__N_143conv_depthwise3d_cuda_backward_input_kernelIN3c104HalfEfLin1ELin1ELin1ELin1ELin1ELin1ELin1ELin1ELin1EEEvN5torch10headeronly6detail27GenericPackedTensorAccessorINS7_14TensorAccessorINS3_8ArrayRefIlEEKT_Lm4ENS6_16DefaultPtrTraitsEiEENS_6detail16IndexBoundsCheckILm5EiEESD_Lm5ESE_iEENS8_INS9_ISB_SC_Lm4ESE_iEESI_SC_Lm5ESE_iEESJ_iiiiiiiii.has_dyn_sized_stack, 0
	.set _ZN2at6native12_GLOBAL__N_143conv_depthwise3d_cuda_backward_input_kernelIN3c104HalfEfLin1ELin1ELin1ELin1ELin1ELin1ELin1ELin1ELin1EEEvN5torch10headeronly6detail27GenericPackedTensorAccessorINS7_14TensorAccessorINS3_8ArrayRefIlEEKT_Lm4ENS6_16DefaultPtrTraitsEiEENS_6detail16IndexBoundsCheckILm5EiEESD_Lm5ESE_iEENS8_INS9_ISB_SC_Lm4ESE_iEESI_SC_Lm5ESE_iEESJ_iiiiiiiii.has_recursion, 0
	.set _ZN2at6native12_GLOBAL__N_143conv_depthwise3d_cuda_backward_input_kernelIN3c104HalfEfLin1ELin1ELin1ELin1ELin1ELin1ELin1ELin1ELin1EEEvN5torch10headeronly6detail27GenericPackedTensorAccessorINS7_14TensorAccessorINS3_8ArrayRefIlEEKT_Lm4ENS6_16DefaultPtrTraitsEiEENS_6detail16IndexBoundsCheckILm5EiEESD_Lm5ESE_iEENS8_INS9_ISB_SC_Lm4ESE_iEESI_SC_Lm5ESE_iEESJ_iiiiiiiii.has_indirect_call, 0
	.section	.AMDGPU.csdata,"",@progbits
; Kernel info:
; codeLenInByte = 2056
; TotalNumSgprs: 70
; NumVgprs: 34
; ScratchSize: 0
; MemoryBound: 0
; FloatMode: 240
; IeeeMode: 1
; LDSByteSize: 0 bytes/workgroup (compile time only)
; SGPRBlocks: 0
; VGPRBlocks: 4
; NumSGPRsForWavesPerEU: 70
; NumVGPRsForWavesPerEU: 34
; Occupancy: 16
; WaveLimiterHint : 0
; COMPUTE_PGM_RSRC2:SCRATCH_EN: 0
; COMPUTE_PGM_RSRC2:USER_SGPR: 6
; COMPUTE_PGM_RSRC2:TRAP_HANDLER: 0
; COMPUTE_PGM_RSRC2:TGID_X_EN: 1
; COMPUTE_PGM_RSRC2:TGID_Y_EN: 0
; COMPUTE_PGM_RSRC2:TGID_Z_EN: 0
; COMPUTE_PGM_RSRC2:TIDIG_COMP_CNT: 0
	.section	.text._ZN2at6native12_GLOBAL__N_143conv_depthwise3d_cuda_backward_input_kernelIN3c108BFloat16EfLi3ELi3ELi3ELi1ELi1ELi1ELi1ELi1ELi1EEEvN5torch10headeronly6detail27GenericPackedTensorAccessorINS7_14TensorAccessorINS3_8ArrayRefIlEEKT_Lm4ENS6_16DefaultPtrTraitsEiEENS_6detail16IndexBoundsCheckILm5EiEESD_Lm5ESE_iEENS8_INS9_ISB_SC_Lm4ESE_iEESI_SC_Lm5ESE_iEESJ_iiiiiiiii,"axG",@progbits,_ZN2at6native12_GLOBAL__N_143conv_depthwise3d_cuda_backward_input_kernelIN3c108BFloat16EfLi3ELi3ELi3ELi1ELi1ELi1ELi1ELi1ELi1EEEvN5torch10headeronly6detail27GenericPackedTensorAccessorINS7_14TensorAccessorINS3_8ArrayRefIlEEKT_Lm4ENS6_16DefaultPtrTraitsEiEENS_6detail16IndexBoundsCheckILm5EiEESD_Lm5ESE_iEENS8_INS9_ISB_SC_Lm4ESE_iEESI_SC_Lm5ESE_iEESJ_iiiiiiiii,comdat
	.globl	_ZN2at6native12_GLOBAL__N_143conv_depthwise3d_cuda_backward_input_kernelIN3c108BFloat16EfLi3ELi3ELi3ELi1ELi1ELi1ELi1ELi1ELi1EEEvN5torch10headeronly6detail27GenericPackedTensorAccessorINS7_14TensorAccessorINS3_8ArrayRefIlEEKT_Lm4ENS6_16DefaultPtrTraitsEiEENS_6detail16IndexBoundsCheckILm5EiEESD_Lm5ESE_iEENS8_INS9_ISB_SC_Lm4ESE_iEESI_SC_Lm5ESE_iEESJ_iiiiiiiii ; -- Begin function _ZN2at6native12_GLOBAL__N_143conv_depthwise3d_cuda_backward_input_kernelIN3c108BFloat16EfLi3ELi3ELi3ELi1ELi1ELi1ELi1ELi1ELi1EEEvN5torch10headeronly6detail27GenericPackedTensorAccessorINS7_14TensorAccessorINS3_8ArrayRefIlEEKT_Lm4ENS6_16DefaultPtrTraitsEiEENS_6detail16IndexBoundsCheckILm5EiEESD_Lm5ESE_iEENS8_INS9_ISB_SC_Lm4ESE_iEESI_SC_Lm5ESE_iEESJ_iiiiiiiii
	.p2align	8
	.type	_ZN2at6native12_GLOBAL__N_143conv_depthwise3d_cuda_backward_input_kernelIN3c108BFloat16EfLi3ELi3ELi3ELi1ELi1ELi1ELi1ELi1ELi1EEEvN5torch10headeronly6detail27GenericPackedTensorAccessorINS7_14TensorAccessorINS3_8ArrayRefIlEEKT_Lm4ENS6_16DefaultPtrTraitsEiEENS_6detail16IndexBoundsCheckILm5EiEESD_Lm5ESE_iEENS8_INS9_ISB_SC_Lm4ESE_iEESI_SC_Lm5ESE_iEESJ_iiiiiiiii,@function
_ZN2at6native12_GLOBAL__N_143conv_depthwise3d_cuda_backward_input_kernelIN3c108BFloat16EfLi3ELi3ELi3ELi1ELi1ELi1ELi1ELi1ELi1EEEvN5torch10headeronly6detail27GenericPackedTensorAccessorINS7_14TensorAccessorINS3_8ArrayRefIlEEKT_Lm4ENS6_16DefaultPtrTraitsEiEENS_6detail16IndexBoundsCheckILm5EiEESD_Lm5ESE_iEENS8_INS9_ISB_SC_Lm4ESE_iEESI_SC_Lm5ESE_iEESJ_iiiiiiiii: ; @_ZN2at6native12_GLOBAL__N_143conv_depthwise3d_cuda_backward_input_kernelIN3c108BFloat16EfLi3ELi3ELi3ELi1ELi1ELi1ELi1ELi1ELi1EEEvN5torch10headeronly6detail27GenericPackedTensorAccessorINS7_14TensorAccessorINS3_8ArrayRefIlEEKT_Lm4ENS6_16DefaultPtrTraitsEiEENS_6detail16IndexBoundsCheckILm5EiEESD_Lm5ESE_iEENS8_INS9_ISB_SC_Lm4ESE_iEESI_SC_Lm5ESE_iEESJ_iiiiiiiii
; %bb.0:
	s_mov_b64 s[74:75], s[2:3]
	s_mov_b64 s[72:73], s[0:1]
	s_clause 0x2
	s_load_dwordx4 s[8:11], s[4:5], 0x38
	s_load_dword s2, s[4:5], 0xc4
	s_load_dwordx2 s[24:25], s[4:5], 0x48
	s_add_u32 s72, s72, s7
	s_addc_u32 s73, s73, 0
	s_waitcnt lgkmcnt(0)
	s_abs_i32 s33, s9
	s_add_u32 s0, s4, 0xb8
	v_cvt_f32_u32_e32 v1, s33
	s_addc_u32 s1, s5, 0
	s_and_b32 s2, s2, 0xffff
	v_rcp_iflag_f32_e32 v2, v1
	v_mov_b32_e32 v1, 0
	v_mad_u64_u32 v[0:1], null, s2, s6, v[0:1]
	s_mul_i32 s6, s25, s8
	s_mov_b32 s8, exec_lo
	v_mul_f32_e32 v2, 0x4f7ffffe, v2
	s_ashr_i32 s7, s6, 31
	v_cvt_u32_f32_e32 v2, v2
	v_readfirstlane_b32 s3, v2
	v_cmpx_gt_i64_e64 s[6:7], v[0:1]
	s_cbranch_execz .LBB27_62
; %bb.1:
	s_clause 0x1
	s_load_dwordx4 s[12:15], s[4:5], 0xc
	s_load_dwordx2 s[26:27], s[4:5], 0x0
	s_sub_i32 s20, 0, s33
	s_mul_i32 s8, s20, s3
	v_mul_lo_u32 v6, s20, v2
	s_mul_hi_u32 s8, s3, s8
	s_add_i32 s3, s3, s8
	s_ashr_i32 s8, s9, 31
	v_mul_hi_u32 v6, v2, v6
	s_waitcnt lgkmcnt(0)
	s_abs_i32 s16, s12
	s_ashr_i32 s12, s12, 31
	s_mul_hi_u32 s3, s16, s3
	s_xor_b32 s12, s12, s8
	s_mul_i32 s17, s3, s33
	v_add_nc_u32_e32 v2, v2, v6
	s_sub_i32 s16, s16, s17
	s_add_i32 s17, s3, 1
	s_sub_i32 s18, s16, s33
	s_cmp_ge_u32 s16, s33
	s_cselect_b32 s3, s17, s3
	s_cselect_b32 s16, s18, s16
	s_add_i32 s17, s3, 1
	s_cmp_ge_u32 s16, s33
	s_cselect_b32 s3, s17, s3
	s_load_dword s0, s[0:1], 0x0
	s_load_dwordx4 s[16:19], s[4:5], 0x9c
	s_xor_b32 s3, s3, s12
	s_waitcnt lgkmcnt(0)
	s_clause 0x2
	s_load_dword s19, s[4:5], 0x7c
	s_load_dwordx2 s[28:29], s[4:5], 0x1c
	s_load_dwordx2 s[30:31], s[4:5], 0x30
	s_sub_i32 s12, s3, s12
	s_cmp_gt_i32 s12, 0
	s_cselect_b32 s36, -1, 0
	s_abs_i32 s37, s24
	s_abs_i32 s38, s11
	;; [unrolled: 1-line block ×3, first 2 shown]
	v_cvt_f32_u32_e32 v3, s37
	v_cvt_f32_u32_e32 v4, s38
	;; [unrolled: 1-line block ×3, first 2 shown]
	s_sub_i32 s1, 0, s37
	s_sub_i32 s3, 0, s38
	v_rcp_iflag_f32_e32 v3, v3
	v_rcp_iflag_f32_e32 v4, v4
	;; [unrolled: 1-line block ×3, first 2 shown]
	s_sub_i32 s20, 0, s39
	s_mul_i32 s40, s0, s2
	s_ashr_i32 s41, s24, 31
	s_ashr_i32 s42, s11, 31
	;; [unrolled: 1-line block ×3, first 2 shown]
	s_waitcnt lgkmcnt(0)
	s_mul_i32 s44, s29, s12
	v_mul_f32_e32 v3, 0x4f7ffffe, v3
	v_mul_f32_e32 v4, 0x4f7ffffe, v4
	;; [unrolled: 1-line block ×3, first 2 shown]
	v_cvt_u32_f32_e32 v3, v3
	v_cvt_u32_f32_e32 v4, v4
	;; [unrolled: 1-line block ×3, first 2 shown]
	v_mul_lo_u32 v7, s1, v3
	v_mul_lo_u32 v8, s3, v4
	;; [unrolled: 1-line block ×3, first 2 shown]
	s_clause 0x1
	s_load_dwordx2 s[34:35], s[4:5], 0x60
	s_load_dwordx4 s[20:23], s[4:5], 0x50
	buffer_store_dword v2, off, s[72:75], 0 ; 4-byte Folded Spill
	s_mov_b32 s5, 0
	v_mul_hi_u32 v7, v3, v7
	v_mul_hi_u32 v8, v4, v8
	;; [unrolled: 1-line block ×3, first 2 shown]
	v_add_nc_u32_e32 v2, v3, v7
	v_add_nc_u32_e32 v62, v4, v8
	;; [unrolled: 1-line block ×3, first 2 shown]
	buffer_store_dword v2, off, s[72:75], 0 offset:4 ; 4-byte Folded Spill
	s_branch .LBB27_4
.LBB27_2:                               ;   in Loop: Header=BB27_4 Depth=1
	s_or_b32 exec_lo, exec_lo, s4
.LBB27_3:                               ;   in Loop: Header=BB27_4 Depth=1
	v_mul_lo_u32 v2, v67, s25
	s_waitcnt lgkmcnt(0)
	v_mul_lo_u32 v4, s20, v68
	v_bfe_u32 v5, v72, 16, 1
	v_mul_lo_u32 v6, s21, v66
	v_mul_lo_u32 v8, s22, v65
	;; [unrolled: 1-line block ×3, first 2 shown]
	v_cmp_o_f32_e32 vcc_lo, v72, v72
	v_add3_u32 v13, v72, v5, 0x7fff
	v_ashrrev_i32_e32 v3, 31, v2
	v_ashrrev_i32_e32 v5, 31, v4
	v_mov_b32_e32 v12, 0x7fc0
	v_ashrrev_i32_e32 v7, 31, v6
	v_ashrrev_i32_e32 v9, 31, v8
	v_lshlrev_b64 v[2:3], 1, v[2:3]
	v_lshlrev_b64 v[4:5], 1, v[4:5]
	v_ashrrev_i32_e32 v11, 31, v10
	v_add_co_u32 v14, s0, s30, v2
	v_add_co_ci_u32_e64 v15, null, s31, v3, s0
	v_lshlrev_b64 v[2:3], 1, v[6:7]
	v_add_co_u32 v4, s0, v14, v4
	v_add_co_ci_u32_e64 v5, null, v15, v5, s0
	v_cndmask_b32_sdwa v6, v12, v13, vcc_lo dst_sel:DWORD dst_unused:UNUSED_PAD src0_sel:DWORD src1_sel:WORD_1
	v_add_co_u32 v7, vcc_lo, v4, v2
	v_add_co_ci_u32_e64 v12, null, v5, v3, vcc_lo
	v_lshlrev_b64 v[2:3], 1, v[8:9]
	v_add_co_u32 v0, vcc_lo, v0, s40
	v_lshlrev_b64 v[4:5], 1, v[10:11]
	v_add_co_ci_u32_e64 v1, null, 0, v1, vcc_lo
	v_add_co_u32 v2, vcc_lo, v7, v2
	v_add_co_ci_u32_e64 v3, null, v12, v3, vcc_lo
	v_cmp_le_i64_e32 vcc_lo, s[6:7], v[0:1]
	v_add_co_u32 v2, s0, v2, v4
	v_add_co_ci_u32_e64 v3, null, v3, v5, s0
	s_or_b32 s5, vcc_lo, s5
	global_store_short v[2:3], v6, off
	s_andn2_b32 exec_lo, exec_lo, s5
	s_cbranch_execz .LBB27_62
.LBB27_4:                               ; =>This Loop Header: Depth=1
                                        ;     Child Loop BB27_7 Depth 2
	buffer_load_dword v3, off, s[72:75], 0 offset:4 ; 4-byte Folded Reload
	v_sub_nc_u32_e32 v2, 0, v0
	v_max_i32_e32 v2, v0, v2
	s_waitcnt vmcnt(0)
	v_mul_hi_u32 v3, v2, v3
	v_mul_lo_u32 v4, v3, s37
	v_sub_nc_u32_e32 v2, v2, v4
	v_add_nc_u32_e32 v4, 1, v3
	v_subrev_nc_u32_e32 v5, s37, v2
	v_cmp_le_u32_e32 vcc_lo, s37, v2
	v_cndmask_b32_e32 v3, v3, v4, vcc_lo
	v_cndmask_b32_e32 v2, v2, v5, vcc_lo
	v_ashrrev_i32_e32 v4, 31, v0
	v_add_nc_u32_e32 v5, 1, v3
	v_cmp_le_u32_e32 vcc_lo, s37, v2
	v_xor_b32_e32 v4, s41, v4
	v_cndmask_b32_e32 v2, v3, v5, vcc_lo
	v_xor_b32_e32 v2, v2, v4
	v_sub_nc_u32_e32 v2, v2, v4
	v_sub_nc_u32_e32 v3, 0, v2
	v_max_i32_e32 v3, v2, v3
	v_mul_hi_u32 v4, v3, v62
	v_mul_lo_u32 v5, v4, s38
	v_sub_nc_u32_e32 v3, v3, v5
	v_add_nc_u32_e32 v5, 1, v4
	v_subrev_nc_u32_e32 v6, s38, v3
	v_cmp_le_u32_e32 vcc_lo, s38, v3
	v_cndmask_b32_e32 v4, v4, v5, vcc_lo
	v_cndmask_b32_e32 v3, v3, v6, vcc_lo
	v_ashrrev_i32_e32 v5, 31, v2
	v_add_nc_u32_e32 v6, 1, v4
	v_cmp_le_u32_e32 vcc_lo, s38, v3
	v_xor_b32_e32 v5, s42, v5
	v_cndmask_b32_e32 v3, v4, v6, vcc_lo
	v_xor_b32_e32 v3, v3, v5
	v_sub_nc_u32_e32 v3, v3, v5
	v_sub_nc_u32_e32 v4, 0, v3
	v_max_i32_e32 v4, v3, v4
	v_mul_hi_u32 v5, v4, v63
	v_mul_lo_u32 v6, v5, s39
	v_sub_nc_u32_e32 v4, v4, v6
	v_add_nc_u32_e32 v6, 1, v5
	v_subrev_nc_u32_e32 v7, s39, v4
	v_cmp_le_u32_e32 vcc_lo, s39, v4
	v_cndmask_b32_e32 v5, v5, v6, vcc_lo
	v_cndmask_b32_e32 v4, v4, v7, vcc_lo
	v_ashrrev_i32_e32 v6, 31, v3
	v_add_nc_u32_e32 v7, 1, v5
	v_cmp_le_u32_e32 vcc_lo, s39, v4
	v_xor_b32_e32 v6, s43, v6
	v_cndmask_b32_e32 v4, v5, v7, vcc_lo
	v_xor_b32_e32 v4, v4, v6
	v_sub_nc_u32_e32 v4, v4, v6
	buffer_load_dword v6, off, s[72:75], 0  ; 4-byte Folded Reload
	v_sub_nc_u32_e32 v5, 0, v4
	v_max_i32_e32 v5, v4, v5
	s_waitcnt vmcnt(0)
	v_mul_hi_u32 v6, v5, v6
	v_mul_lo_u32 v7, v6, s33
	v_sub_nc_u32_e32 v5, v5, v7
	v_add_nc_u32_e32 v7, 1, v6
	v_subrev_nc_u32_e32 v8, s33, v5
	v_cmp_le_u32_e32 vcc_lo, s33, v5
	v_cndmask_b32_e32 v6, v6, v7, vcc_lo
	v_cndmask_b32_e32 v5, v5, v8, vcc_lo
	v_ashrrev_i32_e32 v7, 31, v4
	v_add_nc_u32_e32 v8, 1, v6
	v_cmp_le_u32_e32 vcc_lo, s33, v5
	v_xor_b32_e32 v7, s8, v7
	v_cndmask_b32_e32 v5, v6, v8, vcc_lo
	v_mul_lo_u32 v6, v3, s11
	s_andn2_b32 vcc_lo, exec_lo, s36
	v_xor_b32_e32 v5, v5, v7
	v_sub_nc_u32_e32 v65, v2, v6
	v_sub_nc_u32_e32 v67, v5, v7
	v_mul_lo_u32 v5, v2, s24
	v_mul_lo_u32 v7, v4, s10
	;; [unrolled: 1-line block ×3, first 2 shown]
	v_sub_nc_u32_e32 v64, v0, v5
	v_sub_nc_u32_e32 v66, v3, v7
	;; [unrolled: 1-line block ×3, first 2 shown]
	s_cbranch_vccnz .LBB27_61
; %bb.5:                                ;   in Loop: Header=BB27_4 Depth=1
	v_mul_lo_u32 v69, v68, s12
	v_mul_lo_u32 v2, s28, v67
	v_add_nc_u32_e32 v19, s16, v66
	v_add_nc_u32_e32 v25, s17, v65
	;; [unrolled: 1-line block ×3, first 2 shown]
	v_mul_lo_u32 v29, v19, s14
	v_mul_lo_u32 v4, s19, v69
	v_ashrrev_i32_e32 v3, 31, v2
	v_or_b32_e32 v6, v20, v25
	v_add_nc_u32_e32 v21, -1, v20
	v_cmp_gt_i32_e64 s0, s14, v25
	v_add_nc_u32_e32 v26, -2, v19
	v_lshlrev_b64 v[2:3], 1, v[2:3]
	v_add_nc_u32_e32 v7, v25, v29
	v_ashrrev_i32_e32 v5, 31, v4
	v_add_nc_u32_e32 v30, -1, v19
	v_cmp_gt_i32_e32 vcc_lo, s13, v19
	v_add_nc_u32_e32 v23, -2, v20
	v_add_co_u32 v70, s1, s26, v2
	v_lshlrev_b64 v[4:5], 1, v[4:5]
	v_add_co_ci_u32_e64 v71, null, s27, v3, s1
	v_mul_lo_u32 v8, v7, s15
	v_or_b32_e32 v7, v21, v25
	v_or_b32_e32 v27, v6, v26
	s_waitcnt lgkmcnt(0)
	v_add_co_u32 v2, s1, s34, v4
	v_or_b32_e32 v4, v6, v19
	v_add_co_ci_u32_e64 v3, null, s35, v5, s1
	v_cmp_gt_i32_e64 s1, s15, v20
	v_or_b32_e32 v31, v6, v30
	v_cmp_lt_i32_e64 s2, -1, v4
	v_or_b32_e32 v6, v7, v19
	v_or_b32_e32 v9, v23, v25
	s_and_b32 s63, s1, s0
	v_add_nc_u32_e32 v24, -1, v25
	s_and_b32 s2, s63, s2
	v_cmp_lt_i32_e64 s3, -1, v6
	s_and_b32 s45, s2, vcc_lo
	v_cmp_gt_i32_e64 s2, s15, v21
	v_or_b32_e32 v10, v9, v19
	v_or_b32_e32 v11, v20, v24
	v_or_b32_e32 v13, v21, v24
	v_add_nc_u32_e32 v12, v24, v29
	s_and_b32 s64, s2, s0
	v_cmp_lt_i32_e64 s4, -1, v10
	s_and_b32 s3, s64, s3
	v_or_b32_e32 v10, v11, v19
	s_and_b32 s46, s3, vcc_lo
	v_cmp_gt_i32_e64 s3, s15, v23
	v_mul_lo_u32 v15, v12, s15
	v_or_b32_e32 v12, v13, v19
	v_or_b32_e32 v14, v23, v24
	v_add_nc_u32_e32 v22, -2, v25
	s_and_b32 s65, s3, s0
	v_cmp_gt_i32_e64 s0, s14, v24
	s_and_b32 s4, s65, s4
	v_or_b32_e32 v16, v14, v19
	s_and_b32 s47, s4, vcc_lo
	v_cmp_lt_i32_e64 s4, -1, v10
	s_and_b32 s66, s1, s0
	s_and_b32 s67, s2, s0
	v_or_b32_e32 v32, v21, v22
	s_and_b32 s68, s3, s0
	s_and_b32 s4, s66, s4
	v_or_b32_e32 v17, v20, v22
	s_and_b32 s48, s4, vcc_lo
	v_cmp_lt_i32_e64 s4, -1, v12
	v_or_b32_e32 v18, v32, v19
	v_or_b32_e32 v34, v23, v22
	;; [unrolled: 1-line block ×4, first 2 shown]
	s_and_b32 s4, s67, s4
	v_or_b32_e32 v36, v11, v30
	s_and_b32 s49, s4, vcc_lo
	v_cmp_lt_i32_e64 s4, -1, v16
	v_add_nc_u32_e32 v16, v22, v29
	v_or_b32_e32 v41, v34, v19
	v_or_b32_e32 v38, v13, v30
	;; [unrolled: 1-line block ×3, first 2 shown]
	s_and_b32 s0, s68, s4
	v_mul_lo_u32 v37, v16, s15
	s_and_b32 s50, s0, vcc_lo
	v_cmp_gt_i32_e64 s0, s14, v22
	v_or_b32_e32 v16, v17, v19
	v_or_b32_e32 v40, v17, v30
	v_subrev_nc_u32_e32 v44, s14, v29
	v_or_b32_e32 v42, v32, v30
	s_and_b32 s70, s1, s0
	v_cmp_lt_i32_e64 s1, -1, v18
	s_and_b32 s69, s2, s0
	v_cmp_lt_i32_e64 s4, -1, v16
	s_and_b32 s71, s3, s0
	v_cmp_lt_i32_e64 s0, -1, v31
	s_and_b32 s1, s69, s1
	v_or_b32_e32 v43, v34, v30
	s_and_b32 s52, s1, vcc_lo
	v_cmp_lt_i32_e64 s1, -1, v41
	s_and_b32 s4, s70, s4
	s_and_b32 s0, s63, s0
	s_and_b32 s51, s4, vcc_lo
	v_or_b32_e32 v55, v32, v26
	s_and_b32 s2, s71, s1
	v_cmp_gt_i32_e64 s1, s13, v30
	s_and_b32 s53, s2, vcc_lo
	v_cmp_lt_i32_e32 vcc_lo, -1, v33
	v_add_nc_u32_e32 v32, v25, v44
	v_subrev_nc_u32_e32 v53, s14, v44
	s_and_b32 s54, s0, s1
	v_or_b32_e32 v28, v7, v26
	s_and_b32 s0, s64, vcc_lo
	v_cmp_lt_i32_e32 vcc_lo, -1, v35
	s_and_b32 s55, s0, s1
	v_cmp_lt_i32_e64 s0, -1, v36
	v_add_nc_u32_e32 v16, v20, v37
	v_add_nc_u32_e32 v18, v21, v37
	s_and_b32 s2, s65, vcc_lo
	v_cmp_lt_i32_e32 vcc_lo, -1, v38
	s_and_b32 s0, s66, s0
	s_and_b32 s56, s2, s1
	;; [unrolled: 1-line block ×3, first 2 shown]
	v_add_nc_u32_e32 v29, v23, v37
	s_and_b32 s0, s67, vcc_lo
	v_cmp_lt_i32_e32 vcc_lo, -1, v39
	s_and_b32 s58, s0, s1
	v_cmp_lt_i32_e64 s0, -1, v40
	v_mul_lo_u32 v37, v32, s15
	v_add_nc_u32_e32 v32, v24, v44
	s_and_b32 s2, s68, vcc_lo
	v_cmp_lt_i32_e32 vcc_lo, -1, v42
	s_and_b32 s59, s2, s1
	s_and_b32 s2, s70, s0
	v_cmp_lt_i32_e64 s0, -1, v43
	v_add_nc_u32_e32 v45, v22, v44
	v_add_nc_u32_e32 v25, v25, v53
	;; [unrolled: 1-line block ×3, first 2 shown]
	v_or_b32_e32 v51, v13, v26
	s_and_b32 s60, s2, s1
	s_and_b32 s2, s69, vcc_lo
	s_and_b32 s3, s71, s0
	v_cmp_lt_i32_e64 s0, -1, v28
	v_add_nc_u32_e32 v22, v22, v53
	v_or_b32_e32 v50, v11, v26
	s_and_b32 s61, s2, s1
	v_cmp_lt_i32_e64 s2, -1, v27
	v_mul_lo_u32 v41, v32, s15
	v_mul_lo_u32 v46, v45, s15
	;; [unrolled: 1-line block ×4, first 2 shown]
	s_and_b32 s4, s64, s0
	v_cmp_lt_i32_e64 s0, -1, v51
	v_mul_lo_u32 v22, v22, s15
	v_or_b32_e32 v49, v9, v26
	v_or_b32_e32 v57, v34, v26
	v_cmp_gt_i32_e32 vcc_lo, s13, v26
	s_and_b32 s62, s3, s1
	s_and_b32 s1, s63, s2
	v_cmp_lt_i32_e64 s2, -1, v50
	s_and_b32 s0, s67, s0
	v_add_nc_u32_e32 v31, v20, v37
	v_add_nc_u32_e32 v33, v21, v37
	;; [unrolled: 1-line block ×7, first 2 shown]
	s_and_b32 s63, s1, vcc_lo
	v_cmp_lt_i32_e64 s1, -1, v49
	v_add_nc_u32_e32 v49, v20, v25
	s_and_b32 s2, s66, s2
	s_and_b32 s66, s0, vcc_lo
	v_cmp_lt_i32_e64 s0, -1, v57
	v_add_nc_u32_e32 v57, v21, v24
	v_add_nc_u32_e32 v4, v20, v8
	;; [unrolled: 1-line block ×6, first 2 shown]
	v_or_b32_e32 v52, v14, v26
	v_add_nc_u32_e32 v14, v23, v15
	v_or_b32_e32 v54, v17, v26
	v_add_nc_u32_e32 v43, v20, v46
	v_add_nc_u32_e32 v45, v21, v46
	;; [unrolled: 1-line block ×3, first 2 shown]
	s_and_b32 s64, s4, vcc_lo
	v_add_nc_u32_e32 v53, v23, v25
	v_cmp_lt_i32_e64 s4, -1, v55
	v_add_nc_u32_e32 v55, v20, v24
	v_add_nc_u32_e32 v59, v23, v24
	;; [unrolled: 1-line block ×5, first 2 shown]
	v_ashrrev_i32_e32 v30, 31, v29
	v_ashrrev_i32_e32 v32, 31, v31
	;; [unrolled: 1-line block ×8, first 2 shown]
	s_and_b32 s1, s65, s1
	v_ashrrev_i32_e32 v58, 31, v57
	v_ashrrev_i32_e32 v5, 31, v4
	;; [unrolled: 1-line block ×12, first 2 shown]
	v_cmp_lt_i32_e64 s3, -1, v52
	v_ashrrev_i32_e32 v52, 31, v51
	s_and_b32 s65, s1, vcc_lo
	v_cmp_lt_i32_e64 s1, -1, v54
	v_ashrrev_i32_e32 v54, 31, v53
	v_ashrrev_i32_e32 v56, 31, v55
	v_ashrrev_i32_e32 v60, 31, v59
	v_ashrrev_i32_e32 v73, 31, v72
	v_ashrrev_i32_e32 v75, 31, v74
	v_ashrrev_i32_e32 v77, 31, v76
	v_lshlrev_b64 v[20:21], 1, v[29:30]
	v_lshlrev_b64 v[22:23], 1, v[31:32]
	;; [unrolled: 1-line block ×9, first 2 shown]
	v_mul_lo_u32 v58, s44, v68
	v_lshlrev_b64 v[4:5], 1, v[4:5]
	v_lshlrev_b64 v[6:7], 1, v[6:7]
	;; [unrolled: 1-line block ×18, first 2 shown]
	v_add_nc_u32_e32 v73, s12, v69
	v_mov_b32_e32 v72, 0
	s_and_b32 s3, s68, s3
	s_and_b32 s1, s70, s1
	;; [unrolled: 1-line block ×4, first 2 shown]
	s_and_b32 s2, s2, vcc_lo
	s_and_b32 s3, s3, vcc_lo
	;; [unrolled: 1-line block ×5, first 2 shown]
	s_mov_b32 s4, 0
	s_branch .LBB27_7
.LBB27_6:                               ;   in Loop: Header=BB27_7 Depth=2
	s_or_b32 exec_lo, exec_lo, s68
	s_waitcnt vmcnt(26)
	v_lshlrev_b32_e32 v61, 16, v74
	v_add_nc_u32_e32 v69, 1, v69
	v_add_co_u32 v2, vcc_lo, v2, 54
	v_add_co_ci_u32_e64 v3, null, 0, v3, vcc_lo
	v_fmac_f32_e32 v72, v59, v61
	s_waitcnt vmcnt(25)
	v_lshlrev_b32_e32 v59, 16, v77
	v_cmp_ge_i32_e32 vcc_lo, v69, v73
	v_add_nc_u32_e32 v58, s29, v58
	v_fmac_f32_e32 v72, v79, v59
	s_waitcnt vmcnt(24)
	v_lshlrev_b32_e32 v59, 16, v80
	s_or_b32 s4, vcc_lo, s4
	v_fmac_f32_e32 v72, v78, v59
	s_waitcnt vmcnt(23)
	v_lshlrev_b32_e32 v59, 16, v81
	v_fmac_f32_e32 v72, v83, v59
	s_waitcnt vmcnt(22)
	v_lshlrev_b32_e32 v59, 16, v84
	;; [unrolled: 3-line block ×24, first 2 shown]
	v_fmac_f32_e32 v72, v126, v59
	s_andn2_b32 exec_lo, exec_lo, s4
	s_cbranch_execz .LBB27_2
.LBB27_7:                               ;   Parent Loop BB27_4 Depth=1
                                        ; =>  This Inner Loop Header: Depth=2
	global_load_ushort v74, v[2:3], off
	v_ashrrev_i32_e32 v59, 31, v58
	v_lshlrev_b64 v[59:60], 1, v[58:59]
	v_add_co_u32 v75, vcc_lo, v70, v59
	v_add_co_ci_u32_e64 v76, null, v71, v60, vcc_lo
	v_mov_b32_e32 v59, 0
	s_and_saveexec_b32 s68, s45
	s_cbranch_execz .LBB27_9
; %bb.8:                                ;   in Loop: Header=BB27_7 Depth=2
	v_add_co_u32 v59, vcc_lo, v75, v4
	v_add_co_ci_u32_e64 v60, null, v76, v5, vcc_lo
	global_load_ushort v59, v[59:60], off
	s_waitcnt vmcnt(0)
	v_lshlrev_b32_e32 v59, 16, v59
.LBB27_9:                               ;   in Loop: Header=BB27_7 Depth=2
	s_or_b32 exec_lo, exec_lo, s68
	global_load_ushort v77, v[2:3], off offset:2
	v_mov_b32_e32 v78, 0
	v_mov_b32_e32 v79, 0
	s_and_saveexec_b32 s68, s46
	s_cbranch_execz .LBB27_11
; %bb.10:                               ;   in Loop: Header=BB27_7 Depth=2
	v_add_co_u32 v79, vcc_lo, v75, v6
	v_add_co_ci_u32_e64 v80, null, v76, v7, vcc_lo
	global_load_ushort v60, v[79:80], off
	s_waitcnt vmcnt(0)
	v_lshlrev_b32_e32 v79, 16, v60
.LBB27_11:                              ;   in Loop: Header=BB27_7 Depth=2
	s_or_b32 exec_lo, exec_lo, s68
	global_load_ushort v80, v[2:3], off offset:4
	s_and_saveexec_b32 s68, s47
	s_cbranch_execz .LBB27_13
; %bb.12:                               ;   in Loop: Header=BB27_7 Depth=2
	v_add_co_u32 v81, vcc_lo, v75, v8
	v_add_co_ci_u32_e64 v82, null, v76, v9, vcc_lo
	global_load_ushort v60, v[81:82], off
	s_waitcnt vmcnt(0)
	v_lshlrev_b32_e32 v78, 16, v60
.LBB27_13:                              ;   in Loop: Header=BB27_7 Depth=2
	s_or_b32 exec_lo, exec_lo, s68
	global_load_ushort v81, v[2:3], off offset:6
	v_mov_b32_e32 v82, 0
	v_mov_b32_e32 v83, 0
	s_and_saveexec_b32 s68, s48
	s_cbranch_execz .LBB27_15
; %bb.14:                               ;   in Loop: Header=BB27_7 Depth=2
	v_add_co_u32 v83, vcc_lo, v75, v10
	v_add_co_ci_u32_e64 v84, null, v76, v11, vcc_lo
	global_load_ushort v60, v[83:84], off
	s_waitcnt vmcnt(0)
	v_lshlrev_b32_e32 v83, 16, v60
.LBB27_15:                              ;   in Loop: Header=BB27_7 Depth=2
	s_or_b32 exec_lo, exec_lo, s68
	global_load_ushort v84, v[2:3], off offset:8
	s_and_saveexec_b32 s68, s49
	s_cbranch_execz .LBB27_17
; %bb.16:                               ;   in Loop: Header=BB27_7 Depth=2
	v_add_co_u32 v85, vcc_lo, v75, v12
	v_add_co_ci_u32_e64 v86, null, v76, v13, vcc_lo
	global_load_ushort v60, v[85:86], off
	s_waitcnt vmcnt(0)
	v_lshlrev_b32_e32 v82, 16, v60
.LBB27_17:                              ;   in Loop: Header=BB27_7 Depth=2
	;; [unrolled: 24-line block ×12, first 2 shown]
	s_or_b32 exec_lo, exec_lo, s68
	global_load_ushort v125, v[2:3], off offset:50
	v_mov_b32_e32 v126, 0
	v_mov_b32_e32 v127, 0
	s_and_saveexec_b32 s68, s0
	s_cbranch_execz .LBB27_59
; %bb.58:                               ;   in Loop: Header=BB27_7 Depth=2
	v_add_co_u32 v60, vcc_lo, v75, v54
	v_add_co_ci_u32_e64 v61, null, v76, v55, vcc_lo
	global_load_ushort v60, v[60:61], off
	s_waitcnt vmcnt(0)
	v_lshlrev_b32_e32 v127, 16, v60
.LBB27_59:                              ;   in Loop: Header=BB27_7 Depth=2
	s_or_b32 exec_lo, exec_lo, s68
	global_load_ushort v60, v[2:3], off offset:52
	s_and_saveexec_b32 s68, s67
	s_cbranch_execz .LBB27_6
; %bb.60:                               ;   in Loop: Header=BB27_7 Depth=2
	v_add_co_u32 v75, vcc_lo, v75, v56
	v_add_co_ci_u32_e64 v76, null, v76, v57, vcc_lo
	global_load_ushort v61, v[75:76], off
	s_waitcnt vmcnt(0)
	v_lshlrev_b32_e32 v126, 16, v61
	s_branch .LBB27_6
.LBB27_61:                              ;   in Loop: Header=BB27_4 Depth=1
	v_mov_b32_e32 v72, 0
	s_branch .LBB27_3
.LBB27_62:
	s_endpgm
	.section	.rodata,"a",@progbits
	.p2align	6, 0x0
	.amdhsa_kernel _ZN2at6native12_GLOBAL__N_143conv_depthwise3d_cuda_backward_input_kernelIN3c108BFloat16EfLi3ELi3ELi3ELi1ELi1ELi1ELi1ELi1ELi1EEEvN5torch10headeronly6detail27GenericPackedTensorAccessorINS7_14TensorAccessorINS3_8ArrayRefIlEEKT_Lm4ENS6_16DefaultPtrTraitsEiEENS_6detail16IndexBoundsCheckILm5EiEESD_Lm5ESE_iEENS8_INS9_ISB_SC_Lm4ESE_iEESI_SC_Lm5ESE_iEESJ_iiiiiiiii
		.amdhsa_group_segment_fixed_size 0
		.amdhsa_private_segment_fixed_size 12
		.amdhsa_kernarg_size 440
		.amdhsa_user_sgpr_count 6
		.amdhsa_user_sgpr_private_segment_buffer 1
		.amdhsa_user_sgpr_dispatch_ptr 0
		.amdhsa_user_sgpr_queue_ptr 0
		.amdhsa_user_sgpr_kernarg_segment_ptr 1
		.amdhsa_user_sgpr_dispatch_id 0
		.amdhsa_user_sgpr_flat_scratch_init 0
		.amdhsa_user_sgpr_private_segment_size 0
		.amdhsa_wavefront_size32 1
		.amdhsa_uses_dynamic_stack 0
		.amdhsa_system_sgpr_private_segment_wavefront_offset 1
		.amdhsa_system_sgpr_workgroup_id_x 1
		.amdhsa_system_sgpr_workgroup_id_y 0
		.amdhsa_system_sgpr_workgroup_id_z 0
		.amdhsa_system_sgpr_workgroup_info 0
		.amdhsa_system_vgpr_workitem_id 0
		.amdhsa_next_free_vgpr 128
		.amdhsa_next_free_sgpr 76
		.amdhsa_reserve_vcc 1
		.amdhsa_reserve_flat_scratch 0
		.amdhsa_float_round_mode_32 0
		.amdhsa_float_round_mode_16_64 0
		.amdhsa_float_denorm_mode_32 3
		.amdhsa_float_denorm_mode_16_64 3
		.amdhsa_dx10_clamp 1
		.amdhsa_ieee_mode 1
		.amdhsa_fp16_overflow 0
		.amdhsa_workgroup_processor_mode 1
		.amdhsa_memory_ordered 1
		.amdhsa_forward_progress 1
		.amdhsa_shared_vgpr_count 0
		.amdhsa_exception_fp_ieee_invalid_op 0
		.amdhsa_exception_fp_denorm_src 0
		.amdhsa_exception_fp_ieee_div_zero 0
		.amdhsa_exception_fp_ieee_overflow 0
		.amdhsa_exception_fp_ieee_underflow 0
		.amdhsa_exception_fp_ieee_inexact 0
		.amdhsa_exception_int_div_zero 0
	.end_amdhsa_kernel
	.section	.text._ZN2at6native12_GLOBAL__N_143conv_depthwise3d_cuda_backward_input_kernelIN3c108BFloat16EfLi3ELi3ELi3ELi1ELi1ELi1ELi1ELi1ELi1EEEvN5torch10headeronly6detail27GenericPackedTensorAccessorINS7_14TensorAccessorINS3_8ArrayRefIlEEKT_Lm4ENS6_16DefaultPtrTraitsEiEENS_6detail16IndexBoundsCheckILm5EiEESD_Lm5ESE_iEENS8_INS9_ISB_SC_Lm4ESE_iEESI_SC_Lm5ESE_iEESJ_iiiiiiiii,"axG",@progbits,_ZN2at6native12_GLOBAL__N_143conv_depthwise3d_cuda_backward_input_kernelIN3c108BFloat16EfLi3ELi3ELi3ELi1ELi1ELi1ELi1ELi1ELi1EEEvN5torch10headeronly6detail27GenericPackedTensorAccessorINS7_14TensorAccessorINS3_8ArrayRefIlEEKT_Lm4ENS6_16DefaultPtrTraitsEiEENS_6detail16IndexBoundsCheckILm5EiEESD_Lm5ESE_iEENS8_INS9_ISB_SC_Lm4ESE_iEESI_SC_Lm5ESE_iEESJ_iiiiiiiii,comdat
.Lfunc_end27:
	.size	_ZN2at6native12_GLOBAL__N_143conv_depthwise3d_cuda_backward_input_kernelIN3c108BFloat16EfLi3ELi3ELi3ELi1ELi1ELi1ELi1ELi1ELi1EEEvN5torch10headeronly6detail27GenericPackedTensorAccessorINS7_14TensorAccessorINS3_8ArrayRefIlEEKT_Lm4ENS6_16DefaultPtrTraitsEiEENS_6detail16IndexBoundsCheckILm5EiEESD_Lm5ESE_iEENS8_INS9_ISB_SC_Lm4ESE_iEESI_SC_Lm5ESE_iEESJ_iiiiiiiii, .Lfunc_end27-_ZN2at6native12_GLOBAL__N_143conv_depthwise3d_cuda_backward_input_kernelIN3c108BFloat16EfLi3ELi3ELi3ELi1ELi1ELi1ELi1ELi1ELi1EEEvN5torch10headeronly6detail27GenericPackedTensorAccessorINS7_14TensorAccessorINS3_8ArrayRefIlEEKT_Lm4ENS6_16DefaultPtrTraitsEiEENS_6detail16IndexBoundsCheckILm5EiEESD_Lm5ESE_iEENS8_INS9_ISB_SC_Lm4ESE_iEESI_SC_Lm5ESE_iEESJ_iiiiiiiii
                                        ; -- End function
	.set _ZN2at6native12_GLOBAL__N_143conv_depthwise3d_cuda_backward_input_kernelIN3c108BFloat16EfLi3ELi3ELi3ELi1ELi1ELi1ELi1ELi1ELi1EEEvN5torch10headeronly6detail27GenericPackedTensorAccessorINS7_14TensorAccessorINS3_8ArrayRefIlEEKT_Lm4ENS6_16DefaultPtrTraitsEiEENS_6detail16IndexBoundsCheckILm5EiEESD_Lm5ESE_iEENS8_INS9_ISB_SC_Lm4ESE_iEESI_SC_Lm5ESE_iEESJ_iiiiiiiii.num_vgpr, 128
	.set _ZN2at6native12_GLOBAL__N_143conv_depthwise3d_cuda_backward_input_kernelIN3c108BFloat16EfLi3ELi3ELi3ELi1ELi1ELi1ELi1ELi1ELi1EEEvN5torch10headeronly6detail27GenericPackedTensorAccessorINS7_14TensorAccessorINS3_8ArrayRefIlEEKT_Lm4ENS6_16DefaultPtrTraitsEiEENS_6detail16IndexBoundsCheckILm5EiEESD_Lm5ESE_iEENS8_INS9_ISB_SC_Lm4ESE_iEESI_SC_Lm5ESE_iEESJ_iiiiiiiii.num_agpr, 0
	.set _ZN2at6native12_GLOBAL__N_143conv_depthwise3d_cuda_backward_input_kernelIN3c108BFloat16EfLi3ELi3ELi3ELi1ELi1ELi1ELi1ELi1ELi1EEEvN5torch10headeronly6detail27GenericPackedTensorAccessorINS7_14TensorAccessorINS3_8ArrayRefIlEEKT_Lm4ENS6_16DefaultPtrTraitsEiEENS_6detail16IndexBoundsCheckILm5EiEESD_Lm5ESE_iEENS8_INS9_ISB_SC_Lm4ESE_iEESI_SC_Lm5ESE_iEESJ_iiiiiiiii.numbered_sgpr, 76
	.set _ZN2at6native12_GLOBAL__N_143conv_depthwise3d_cuda_backward_input_kernelIN3c108BFloat16EfLi3ELi3ELi3ELi1ELi1ELi1ELi1ELi1ELi1EEEvN5torch10headeronly6detail27GenericPackedTensorAccessorINS7_14TensorAccessorINS3_8ArrayRefIlEEKT_Lm4ENS6_16DefaultPtrTraitsEiEENS_6detail16IndexBoundsCheckILm5EiEESD_Lm5ESE_iEENS8_INS9_ISB_SC_Lm4ESE_iEESI_SC_Lm5ESE_iEESJ_iiiiiiiii.num_named_barrier, 0
	.set _ZN2at6native12_GLOBAL__N_143conv_depthwise3d_cuda_backward_input_kernelIN3c108BFloat16EfLi3ELi3ELi3ELi1ELi1ELi1ELi1ELi1ELi1EEEvN5torch10headeronly6detail27GenericPackedTensorAccessorINS7_14TensorAccessorINS3_8ArrayRefIlEEKT_Lm4ENS6_16DefaultPtrTraitsEiEENS_6detail16IndexBoundsCheckILm5EiEESD_Lm5ESE_iEENS8_INS9_ISB_SC_Lm4ESE_iEESI_SC_Lm5ESE_iEESJ_iiiiiiiii.private_seg_size, 12
	.set _ZN2at6native12_GLOBAL__N_143conv_depthwise3d_cuda_backward_input_kernelIN3c108BFloat16EfLi3ELi3ELi3ELi1ELi1ELi1ELi1ELi1ELi1EEEvN5torch10headeronly6detail27GenericPackedTensorAccessorINS7_14TensorAccessorINS3_8ArrayRefIlEEKT_Lm4ENS6_16DefaultPtrTraitsEiEENS_6detail16IndexBoundsCheckILm5EiEESD_Lm5ESE_iEENS8_INS9_ISB_SC_Lm4ESE_iEESI_SC_Lm5ESE_iEESJ_iiiiiiiii.uses_vcc, 1
	.set _ZN2at6native12_GLOBAL__N_143conv_depthwise3d_cuda_backward_input_kernelIN3c108BFloat16EfLi3ELi3ELi3ELi1ELi1ELi1ELi1ELi1ELi1EEEvN5torch10headeronly6detail27GenericPackedTensorAccessorINS7_14TensorAccessorINS3_8ArrayRefIlEEKT_Lm4ENS6_16DefaultPtrTraitsEiEENS_6detail16IndexBoundsCheckILm5EiEESD_Lm5ESE_iEENS8_INS9_ISB_SC_Lm4ESE_iEESI_SC_Lm5ESE_iEESJ_iiiiiiiii.uses_flat_scratch, 0
	.set _ZN2at6native12_GLOBAL__N_143conv_depthwise3d_cuda_backward_input_kernelIN3c108BFloat16EfLi3ELi3ELi3ELi1ELi1ELi1ELi1ELi1ELi1EEEvN5torch10headeronly6detail27GenericPackedTensorAccessorINS7_14TensorAccessorINS3_8ArrayRefIlEEKT_Lm4ENS6_16DefaultPtrTraitsEiEENS_6detail16IndexBoundsCheckILm5EiEESD_Lm5ESE_iEENS8_INS9_ISB_SC_Lm4ESE_iEESI_SC_Lm5ESE_iEESJ_iiiiiiiii.has_dyn_sized_stack, 0
	.set _ZN2at6native12_GLOBAL__N_143conv_depthwise3d_cuda_backward_input_kernelIN3c108BFloat16EfLi3ELi3ELi3ELi1ELi1ELi1ELi1ELi1ELi1EEEvN5torch10headeronly6detail27GenericPackedTensorAccessorINS7_14TensorAccessorINS3_8ArrayRefIlEEKT_Lm4ENS6_16DefaultPtrTraitsEiEENS_6detail16IndexBoundsCheckILm5EiEESD_Lm5ESE_iEENS8_INS9_ISB_SC_Lm4ESE_iEESI_SC_Lm5ESE_iEESJ_iiiiiiiii.has_recursion, 0
	.set _ZN2at6native12_GLOBAL__N_143conv_depthwise3d_cuda_backward_input_kernelIN3c108BFloat16EfLi3ELi3ELi3ELi1ELi1ELi1ELi1ELi1ELi1EEEvN5torch10headeronly6detail27GenericPackedTensorAccessorINS7_14TensorAccessorINS3_8ArrayRefIlEEKT_Lm4ENS6_16DefaultPtrTraitsEiEENS_6detail16IndexBoundsCheckILm5EiEESD_Lm5ESE_iEENS8_INS9_ISB_SC_Lm4ESE_iEESI_SC_Lm5ESE_iEESJ_iiiiiiiii.has_indirect_call, 0
	.section	.AMDGPU.csdata,"",@progbits
; Kernel info:
; codeLenInByte = 4456
; TotalNumSgprs: 78
; NumVgprs: 128
; ScratchSize: 12
; MemoryBound: 0
; FloatMode: 240
; IeeeMode: 1
; LDSByteSize: 0 bytes/workgroup (compile time only)
; SGPRBlocks: 0
; VGPRBlocks: 15
; NumSGPRsForWavesPerEU: 78
; NumVGPRsForWavesPerEU: 128
; Occupancy: 8
; WaveLimiterHint : 0
; COMPUTE_PGM_RSRC2:SCRATCH_EN: 1
; COMPUTE_PGM_RSRC2:USER_SGPR: 6
; COMPUTE_PGM_RSRC2:TRAP_HANDLER: 0
; COMPUTE_PGM_RSRC2:TGID_X_EN: 1
; COMPUTE_PGM_RSRC2:TGID_Y_EN: 0
; COMPUTE_PGM_RSRC2:TGID_Z_EN: 0
; COMPUTE_PGM_RSRC2:TIDIG_COMP_CNT: 0
	.section	.text._ZN2at6native12_GLOBAL__N_143conv_depthwise3d_cuda_backward_input_kernelIN3c108BFloat16EfLi3ELi3ELi3ELi1ELi1ELi1ELin1ELin1ELin1EEEvN5torch10headeronly6detail27GenericPackedTensorAccessorINS7_14TensorAccessorINS3_8ArrayRefIlEEKT_Lm4ENS6_16DefaultPtrTraitsEiEENS_6detail16IndexBoundsCheckILm5EiEESD_Lm5ESE_iEENS8_INS9_ISB_SC_Lm4ESE_iEESI_SC_Lm5ESE_iEESJ_iiiiiiiii,"axG",@progbits,_ZN2at6native12_GLOBAL__N_143conv_depthwise3d_cuda_backward_input_kernelIN3c108BFloat16EfLi3ELi3ELi3ELi1ELi1ELi1ELin1ELin1ELin1EEEvN5torch10headeronly6detail27GenericPackedTensorAccessorINS7_14TensorAccessorINS3_8ArrayRefIlEEKT_Lm4ENS6_16DefaultPtrTraitsEiEENS_6detail16IndexBoundsCheckILm5EiEESD_Lm5ESE_iEENS8_INS9_ISB_SC_Lm4ESE_iEESI_SC_Lm5ESE_iEESJ_iiiiiiiii,comdat
	.globl	_ZN2at6native12_GLOBAL__N_143conv_depthwise3d_cuda_backward_input_kernelIN3c108BFloat16EfLi3ELi3ELi3ELi1ELi1ELi1ELin1ELin1ELin1EEEvN5torch10headeronly6detail27GenericPackedTensorAccessorINS7_14TensorAccessorINS3_8ArrayRefIlEEKT_Lm4ENS6_16DefaultPtrTraitsEiEENS_6detail16IndexBoundsCheckILm5EiEESD_Lm5ESE_iEENS8_INS9_ISB_SC_Lm4ESE_iEESI_SC_Lm5ESE_iEESJ_iiiiiiiii ; -- Begin function _ZN2at6native12_GLOBAL__N_143conv_depthwise3d_cuda_backward_input_kernelIN3c108BFloat16EfLi3ELi3ELi3ELi1ELi1ELi1ELin1ELin1ELin1EEEvN5torch10headeronly6detail27GenericPackedTensorAccessorINS7_14TensorAccessorINS3_8ArrayRefIlEEKT_Lm4ENS6_16DefaultPtrTraitsEiEENS_6detail16IndexBoundsCheckILm5EiEESD_Lm5ESE_iEENS8_INS9_ISB_SC_Lm4ESE_iEESI_SC_Lm5ESE_iEESJ_iiiiiiiii
	.p2align	8
	.type	_ZN2at6native12_GLOBAL__N_143conv_depthwise3d_cuda_backward_input_kernelIN3c108BFloat16EfLi3ELi3ELi3ELi1ELi1ELi1ELin1ELin1ELin1EEEvN5torch10headeronly6detail27GenericPackedTensorAccessorINS7_14TensorAccessorINS3_8ArrayRefIlEEKT_Lm4ENS6_16DefaultPtrTraitsEiEENS_6detail16IndexBoundsCheckILm5EiEESD_Lm5ESE_iEENS8_INS9_ISB_SC_Lm4ESE_iEESI_SC_Lm5ESE_iEESJ_iiiiiiiii,@function
_ZN2at6native12_GLOBAL__N_143conv_depthwise3d_cuda_backward_input_kernelIN3c108BFloat16EfLi3ELi3ELi3ELi1ELi1ELi1ELin1ELin1ELin1EEEvN5torch10headeronly6detail27GenericPackedTensorAccessorINS7_14TensorAccessorINS3_8ArrayRefIlEEKT_Lm4ENS6_16DefaultPtrTraitsEiEENS_6detail16IndexBoundsCheckILm5EiEESD_Lm5ESE_iEENS8_INS9_ISB_SC_Lm4ESE_iEESI_SC_Lm5ESE_iEESJ_iiiiiiiii: ; @_ZN2at6native12_GLOBAL__N_143conv_depthwise3d_cuda_backward_input_kernelIN3c108BFloat16EfLi3ELi3ELi3ELi1ELi1ELi1ELin1ELin1ELin1EEEvN5torch10headeronly6detail27GenericPackedTensorAccessorINS7_14TensorAccessorINS3_8ArrayRefIlEEKT_Lm4ENS6_16DefaultPtrTraitsEiEENS_6detail16IndexBoundsCheckILm5EiEESD_Lm5ESE_iEENS8_INS9_ISB_SC_Lm4ESE_iEESI_SC_Lm5ESE_iEESJ_iiiiiiiii
; %bb.0:
	s_mov_b64 s[102:103], s[2:3]
	s_mov_b64 s[100:101], s[0:1]
	s_clause 0x2
	s_load_dwordx4 s[44:47], s[4:5], 0x38
	s_load_dword s2, s[4:5], 0xc4
	s_load_dwordx2 s[60:61], s[4:5], 0x48
	s_add_u32 s100, s100, s7
	s_addc_u32 s101, s101, 0
                                        ; implicit-def: $vgpr127 : SGPR spill to VGPR lane
	s_waitcnt lgkmcnt(0)
	s_abs_i32 s74, s45
	s_add_u32 s0, s4, 0xb8
	v_cvt_f32_u32_e32 v1, s74
	s_addc_u32 s1, s5, 0
	s_and_b32 s2, s2, 0xffff
	v_rcp_iflag_f32_e32 v2, v1
	v_mov_b32_e32 v1, 0
	v_mad_u64_u32 v[0:1], null, s2, s6, v[0:1]
	s_mul_i32 s6, s61, s44
	v_mul_f32_e32 v2, 0x4f7ffffe, v2
	s_ashr_i32 s7, s6, 31
	v_writelane_b32 v127, s6, 0
	v_cmp_gt_i64_e32 vcc_lo, s[6:7], v[0:1]
	v_cvt_u32_f32_e32 v2, v2
	v_writelane_b32 v127, s7, 1
	v_readfirstlane_b32 s3, v2
	s_and_saveexec_b32 s6, vcc_lo
	s_cbranch_execz .LBB28_62
; %bb.1:
	s_clause 0x2
	s_load_dwordx2 s[8:9], s[4:5], 0xa0
	s_load_dwordx4 s[48:51], s[4:5], 0xc
	s_load_dwordx2 s[66:67], s[4:5], 0x0
	s_sub_i32 s6, 0, s74
	s_load_dword s0, s[0:1], 0x0
	s_mul_i32 s7, s6, s3
	s_clause 0x1
	s_load_dwordx4 s[52:55], s[4:5], 0x90
	s_load_dword s10, s[4:5], 0x7c
	s_mul_hi_u32 s7, s3, s7
	s_ashr_i32 s65, s45, 31
	s_add_i32 s3, s3, s7
	v_mul_lo_u32 v3, s6, v2
	s_clause 0x3
	s_load_dwordx2 s[68:69], s[4:5], 0x1c
	s_load_dwordx2 s[70:71], s[4:5], 0x30
	;; [unrolled: 1-line block ×3, first 2 shown]
	s_load_dwordx4 s[56:59], s[4:5], 0x50
	s_mov_b32 s76, 0
	v_mul_hi_u32 v3, v2, v3
	s_waitcnt lgkmcnt(0)
	v_writelane_b32 v127, s8, 2
	s_abs_i32 s7, s48
	s_mul_hi_u32 s1, s7, s3
	s_ashr_i32 s3, s48, 31
	v_writelane_b32 v127, s9, 3
	s_mul_i32 s8, s1, s74
	s_xor_b32 s3, s3, s65
	s_sub_i32 s7, s7, s8
	s_add_i32 s8, s1, 1
	s_sub_i32 s9, s7, s74
	s_cmp_ge_u32 s7, s74
	v_writelane_b32 v127, s10, 4
	s_cselect_b32 s1, s8, s1
	s_cselect_b32 s7, s9, s7
	s_add_i32 s8, s1, 1
	s_cmp_ge_u32 s7, s74
	s_mul_i32 s0, s0, s2
	s_cselect_b32 s1, s8, s1
	v_writelane_b32 v127, s0, 5
	s_xor_b32 s1, s1, s3
	v_add_nc_u32_e32 v2, v2, v3
	s_sub_i32 s77, s1, s3
	s_cmp_gt_i32 s77, 0
	s_cselect_b32 s0, -1, 0
	s_abs_i32 s80, s60
	s_abs_i32 s81, s47
	v_cvt_f32_u32_e32 v4, s80
	v_cvt_f32_u32_e32 v5, s81
	s_abs_i32 s82, s46
	s_abs_i32 s83, s52
	;; [unrolled: 1-line block ×3, first 2 shown]
	v_rcp_iflag_f32_e32 v4, v4
	s_abs_i32 s85, s54
	v_cvt_f32_u32_e32 v6, s82
	v_cvt_f32_u32_e32 v7, s83
	v_cvt_f32_u32_e32 v8, s84
	v_cvt_f32_u32_e32 v9, s85
	v_rcp_iflag_f32_e32 v5, v5
	v_rcp_iflag_f32_e32 v6, v6
	;; [unrolled: 1-line block ×5, first 2 shown]
	v_mul_f32_e32 v4, 0x4f7ffffe, v4
	v_writelane_b32 v127, s0, 6
	s_sub_i32 s0, 0, s80
	s_sub_i32 s1, 0, s81
	;; [unrolled: 1-line block ×3, first 2 shown]
	v_mul_f32_e32 v5, 0x4f7ffffe, v5
	v_cvt_u32_f32_e32 v4, v4
	v_mul_f32_e32 v6, 0x4f7ffffe, v6
	v_mul_f32_e32 v7, 0x4f7ffffe, v7
	;; [unrolled: 1-line block ×4, first 2 shown]
	v_cvt_u32_f32_e32 v5, v5
	v_mul_lo_u32 v10, s0, v4
	v_cvt_u32_f32_e32 v6, v6
	v_cvt_u32_f32_e32 v7, v7
	;; [unrolled: 1-line block ×3, first 2 shown]
	v_mul_lo_u32 v11, s1, v5
	v_cvt_u32_f32_e32 v9, v9
	s_sub_i32 s3, 0, s83
	s_sub_i32 s4, 0, s84
	;; [unrolled: 1-line block ×3, first 2 shown]
	v_mul_hi_u32 v10, v4, v10
	v_mul_lo_u32 v12, s2, v6
	v_mul_lo_u32 v13, s3, v7
	;; [unrolled: 1-line block ×4, first 2 shown]
	v_mul_hi_u32 v11, v5, v11
	s_ashr_i32 s0, s60, 31
	buffer_store_dword v2, off, s[100:103], 0 offset:12 ; 4-byte Folded Spill
	v_writelane_b32 v127, s0, 7
	v_add_nc_u32_e32 v4, v4, v10
	v_mul_hi_u32 v12, v6, v12
	v_mul_hi_u32 v13, v7, v13
	;; [unrolled: 1-line block ×4, first 2 shown]
	s_ashr_i32 s0, s47, 31
	buffer_store_dword v4, off, s[100:103], 0 ; 4-byte Folded Spill
	v_writelane_b32 v127, s0, 8
	v_add_nc_u32_e32 v4, v5, v11
	s_ashr_i32 s0, s46, 31
	v_add_nc_u32_e32 v2, v7, v13
	v_add_nc_u32_e32 v65, v8, v14
	v_writelane_b32 v127, s0, 9
	buffer_store_dword v4, off, s[100:103], 0 offset:4 ; 4-byte Folded Spill
	v_add_nc_u32_e32 v4, v6, v12
	v_add_nc_u32_e32 v66, v9, v15
	s_ashr_i32 s89, s52, 31
	s_ashr_i32 s90, s53, 31
	;; [unrolled: 1-line block ×3, first 2 shown]
	buffer_store_dword v4, off, s[100:103], 0 offset:8 ; 4-byte Folded Spill
	buffer_store_dword v2, off, s[100:103], 0 offset:16 ; 4-byte Folded Spill
	s_branch .LBB28_4
.LBB28_2:                               ;   in Loop: Header=BB28_4 Depth=1
	s_or_b32 exec_lo, exec_lo, s92
.LBB28_3:                               ;   in Loop: Header=BB28_4 Depth=1
	v_mul_lo_u32 v2, v70, s61
	v_mul_lo_u32 v4, s56, v71
	v_bfe_u32 v5, v76, 16, 1
	v_mul_lo_u32 v6, s57, v69
	v_mul_lo_u32 v8, s58, v68
	v_mul_lo_u32 v10, s59, v67
	v_cmp_o_f32_e32 vcc_lo, v76, v76
	v_add3_u32 v13, v76, v5, 0x7fff
	v_ashrrev_i32_e32 v3, 31, v2
	v_ashrrev_i32_e32 v5, 31, v4
	v_mov_b32_e32 v12, 0x7fc0
	v_ashrrev_i32_e32 v7, 31, v6
	v_ashrrev_i32_e32 v9, 31, v8
	v_lshlrev_b64 v[2:3], 1, v[2:3]
	v_lshlrev_b64 v[4:5], 1, v[4:5]
	v_ashrrev_i32_e32 v11, 31, v10
	v_add_co_u32 v14, s0, s70, v2
	v_add_co_ci_u32_e64 v15, null, s71, v3, s0
	v_lshlrev_b64 v[2:3], 1, v[6:7]
	v_add_co_u32 v4, s0, v14, v4
	v_add_co_ci_u32_e64 v5, null, v15, v5, s0
	v_cndmask_b32_sdwa v6, v12, v13, vcc_lo dst_sel:DWORD dst_unused:UNUSED_PAD src0_sel:DWORD src1_sel:WORD_1
	v_add_co_u32 v7, vcc_lo, v4, v2
	v_readlane_b32 s0, v127, 5
	v_add_co_ci_u32_e64 v12, null, v5, v3, vcc_lo
	v_lshlrev_b64 v[2:3], 1, v[8:9]
	v_lshlrev_b64 v[4:5], 1, v[10:11]
	v_add_co_u32 v0, vcc_lo, v0, s0
	v_readlane_b32 s0, v127, 0
	v_add_co_ci_u32_e64 v1, null, 0, v1, vcc_lo
	v_readlane_b32 s1, v127, 1
	v_add_co_u32 v2, vcc_lo, v7, v2
	v_add_co_ci_u32_e64 v3, null, v12, v3, vcc_lo
	v_cmp_le_i64_e32 vcc_lo, s[0:1], v[0:1]
	v_add_co_u32 v2, s0, v2, v4
	v_add_co_ci_u32_e64 v3, null, v3, v5, s0
	s_or_b32 s76, vcc_lo, s76
	global_store_short v[2:3], v6, off
	s_andn2_b32 exec_lo, exec_lo, s76
	s_cbranch_execz .LBB28_62
.LBB28_4:                               ; =>This Loop Header: Depth=1
                                        ;     Child Loop BB28_7 Depth 2
	buffer_load_dword v3, off, s[100:103], 0 ; 4-byte Folded Reload
	v_sub_nc_u32_e32 v2, 0, v0
	v_readlane_b32 s0, v127, 7
	v_max_i32_e32 v2, v0, v2
	s_waitcnt vmcnt(0)
	v_mul_hi_u32 v3, v2, v3
	v_mul_lo_u32 v4, v3, s80
	v_sub_nc_u32_e32 v2, v2, v4
	v_add_nc_u32_e32 v4, 1, v3
	v_subrev_nc_u32_e32 v5, s80, v2
	v_cmp_le_u32_e32 vcc_lo, s80, v2
	v_cndmask_b32_e32 v3, v3, v4, vcc_lo
	v_cndmask_b32_e32 v2, v2, v5, vcc_lo
	v_ashrrev_i32_e32 v4, 31, v0
	v_add_nc_u32_e32 v5, 1, v3
	v_cmp_le_u32_e32 vcc_lo, s80, v2
	v_xor_b32_e32 v4, s0, v4
	v_readlane_b32 s0, v127, 8
	v_cndmask_b32_e32 v2, v3, v5, vcc_lo
	v_xor_b32_e32 v2, v2, v4
	v_sub_nc_u32_e32 v2, v2, v4
	buffer_load_dword v4, off, s[100:103], 0 offset:4 ; 4-byte Folded Reload
	v_sub_nc_u32_e32 v3, 0, v2
	v_max_i32_e32 v3, v2, v3
	s_waitcnt vmcnt(0)
	v_mul_hi_u32 v4, v3, v4
	v_mul_lo_u32 v5, v4, s81
	v_sub_nc_u32_e32 v3, v3, v5
	v_add_nc_u32_e32 v5, 1, v4
	v_subrev_nc_u32_e32 v6, s81, v3
	v_cmp_le_u32_e32 vcc_lo, s81, v3
	v_cndmask_b32_e32 v4, v4, v5, vcc_lo
	v_cndmask_b32_e32 v3, v3, v6, vcc_lo
	v_ashrrev_i32_e32 v5, 31, v2
	v_add_nc_u32_e32 v6, 1, v4
	v_cmp_le_u32_e32 vcc_lo, s81, v3
	v_xor_b32_e32 v5, s0, v5
	v_readlane_b32 s0, v127, 9
	v_cndmask_b32_e32 v3, v4, v6, vcc_lo
	v_xor_b32_e32 v3, v3, v5
	v_sub_nc_u32_e32 v3, v3, v5
	buffer_load_dword v5, off, s[100:103], 0 offset:8 ; 4-byte Folded Reload
	v_sub_nc_u32_e32 v4, 0, v3
	;; [unrolled: 20-line block ×3, first 2 shown]
	v_max_i32_e32 v5, v4, v5
	s_waitcnt vmcnt(0)
	v_mul_hi_u32 v6, v5, v6
	v_mul_lo_u32 v7, v6, s74
	v_sub_nc_u32_e32 v5, v5, v7
	v_add_nc_u32_e32 v7, 1, v6
	v_subrev_nc_u32_e32 v8, s74, v5
	v_cmp_le_u32_e32 vcc_lo, s74, v5
	v_cndmask_b32_e32 v6, v6, v7, vcc_lo
	v_cndmask_b32_e32 v5, v5, v8, vcc_lo
	v_ashrrev_i32_e32 v7, 31, v4
	v_add_nc_u32_e32 v8, 1, v6
	v_cmp_le_u32_e32 vcc_lo, s74, v5
	v_xor_b32_e32 v7, s65, v7
	v_cndmask_b32_e32 v5, v6, v8, vcc_lo
	v_mul_lo_u32 v6, v3, s47
	s_andn2_b32 vcc_lo, exec_lo, s0
	v_xor_b32_e32 v5, v5, v7
	v_sub_nc_u32_e32 v68, v2, v6
	v_sub_nc_u32_e32 v70, v5, v7
	v_mul_lo_u32 v5, v2, s60
	v_mul_lo_u32 v7, v4, s46
	;; [unrolled: 1-line block ×3, first 2 shown]
	v_sub_nc_u32_e32 v67, v0, v5
	v_sub_nc_u32_e32 v69, v3, v7
	;; [unrolled: 1-line block ×3, first 2 shown]
	s_cbranch_vccnz .LBB28_61
; %bb.5:                                ;   in Loop: Header=BB28_4 Depth=1
	v_readlane_b32 s2, v127, 2
	v_readlane_b32 s3, v127, 3
	v_mul_lo_u32 v72, v71, s77
	v_readlane_b32 s0, v127, 4
	buffer_load_dword v12, off, s[100:103], 0 offset:16 ; 4-byte Folded Reload
	v_mov_b32_e32 v76, 0
	v_add_nc_u32_e32 v4, s3, v67
	s_mov_b32 s92, 0
	v_mul_lo_u32 v2, s0, v72
	v_add_nc_u32_e32 v5, -1, v4
	v_sub_nc_u32_e32 v6, 1, v4
	v_add_nc_u32_e32 v75, s77, v72
	v_max_i32_e32 v6, v5, v6
	v_ashrrev_i32_e32 v3, 31, v2
	v_mul_hi_u32 v7, v6, v66
	v_lshlrev_b64 v[2:3], 1, v[2:3]
	v_add_co_u32 v2, vcc_lo, s72, v2
	v_mul_lo_u32 v8, v7, s85
	v_add_co_ci_u32_e64 v3, null, s73, v3, vcc_lo
	v_sub_nc_u32_e32 v6, v6, v8
	v_add_nc_u32_e32 v8, 1, v7
	v_cmp_le_u32_e32 vcc_lo, s85, v6
	v_cndmask_b32_e32 v7, v7, v8, vcc_lo
	v_subrev_nc_u32_e32 v8, s85, v6
	v_cndmask_b32_e32 v6, v6, v8, vcc_lo
	v_add_nc_u32_e32 v8, 1, v7
	v_cmp_le_u32_e32 vcc_lo, s85, v6
	v_cndmask_b32_e32 v6, v7, v8, vcc_lo
	v_ashrrev_i32_e32 v7, 31, v5
	v_xor_b32_e32 v7, s91, v7
	v_xor_b32_e32 v6, v6, v7
	v_sub_nc_u32_e32 v44, v6, v7
	v_mul_lo_u32 v6, v44, s54
	v_cmp_gt_i32_e64 s43, s51, v44
	v_cmp_eq_u32_e32 vcc_lo, v6, v5
	v_sub_nc_u32_e32 v5, 0, v4
	v_max_i32_e32 v5, v4, v5
	v_mul_hi_u32 v6, v5, v66
	v_mul_lo_u32 v7, v6, s85
	v_sub_nc_u32_e32 v5, v5, v7
	v_add_nc_u32_e32 v7, 1, v6
	v_cmp_le_u32_e64 s0, s85, v5
	v_cndmask_b32_e64 v6, v6, v7, s0
	v_subrev_nc_u32_e32 v7, s85, v5
	v_cndmask_b32_e64 v5, v5, v7, s0
	v_add_nc_u32_e32 v7, 1, v6
	v_cmp_le_u32_e64 s0, s85, v5
	v_cndmask_b32_e64 v5, v6, v7, s0
	v_ashrrev_i32_e32 v6, 31, v4
	v_xor_b32_e32 v6, s91, v6
	v_xor_b32_e32 v5, v5, v6
	v_sub_nc_u32_e32 v45, v5, v6
	v_mul_lo_u32 v5, v45, s54
	v_cmp_gt_i32_e64 s42, s51, v45
	v_cmp_eq_u32_e64 s0, v5, v4
	v_add_nc_u32_e32 v5, -2, v4
	v_sub_nc_u32_e32 v4, 2, v4
	v_max_i32_e32 v4, v5, v4
	v_mul_hi_u32 v6, v4, v66
	v_mul_lo_u32 v7, v6, s85
	v_sub_nc_u32_e32 v4, v4, v7
	v_add_nc_u32_e32 v7, 1, v6
	v_cmp_le_u32_e64 s1, s85, v4
	v_cndmask_b32_e64 v6, v6, v7, s1
	v_subrev_nc_u32_e32 v7, s85, v4
	v_cndmask_b32_e64 v4, v4, v7, s1
	v_add_nc_u32_e32 v7, 1, v6
	v_cmp_le_u32_e64 s1, s85, v4
	v_cndmask_b32_e64 v4, v6, v7, s1
	v_ashrrev_i32_e32 v6, 31, v5
	v_xor_b32_e32 v6, s91, v6
	v_xor_b32_e32 v4, v4, v6
	v_sub_nc_u32_e32 v46, v4, v6
	v_mul_lo_u32 v4, v46, s54
	v_cmp_gt_i32_e64 s44, s51, v46
	v_cmp_eq_u32_e64 s1, v4, v5
	v_add_nc_u32_e32 v5, s2, v68
	v_add_nc_u32_e32 v6, -1, v5
	v_sub_nc_u32_e32 v4, 1, v5
	v_max_i32_e32 v4, v6, v4
	v_mul_hi_u32 v7, v4, v65
	v_mul_lo_u32 v8, v7, s84
	v_sub_nc_u32_e32 v4, v4, v8
	v_add_nc_u32_e32 v8, 1, v7
	v_cmp_le_u32_e64 s2, s84, v4
	v_cndmask_b32_e64 v7, v7, v8, s2
	v_subrev_nc_u32_e32 v8, s84, v4
	v_cndmask_b32_e64 v4, v4, v8, s2
	v_add_nc_u32_e32 v8, 1, v7
	v_cmp_le_u32_e64 s2, s84, v4
	v_cndmask_b32_e64 v4, v7, v8, s2
	v_ashrrev_i32_e32 v7, 31, v6
	v_xor_b32_e32 v7, s90, v7
	v_xor_b32_e32 v4, v4, v7
	v_sub_nc_u32_e32 v4, v4, v7
	v_mul_lo_u32 v7, v4, s53
	v_or_b32_e32 v16, v45, v4
	v_or_b32_e32 v17, v44, v4
	;; [unrolled: 1-line block ×3, first 2 shown]
	v_cmp_gt_i32_e64 s40, s50, v4
	v_cmp_eq_u32_e64 s2, v7, v6
	v_sub_nc_u32_e32 v6, 0, v5
	s_and_b32 s79, s42, s40
	s_and_b32 s75, s43, s40
	;; [unrolled: 1-line block ×3, first 2 shown]
	v_max_i32_e32 v6, v5, v6
	v_mul_hi_u32 v7, v6, v65
	v_mul_lo_u32 v8, v7, s84
	v_sub_nc_u32_e32 v6, v6, v8
	v_add_nc_u32_e32 v8, 1, v7
	v_cmp_le_u32_e64 s3, s84, v6
	v_cndmask_b32_e64 v7, v7, v8, s3
	v_subrev_nc_u32_e32 v8, s84, v6
	v_cndmask_b32_e64 v6, v6, v8, s3
	v_add_nc_u32_e32 v8, 1, v7
	v_cmp_le_u32_e64 s3, s84, v6
	v_cndmask_b32_e64 v6, v7, v8, s3
	v_ashrrev_i32_e32 v7, 31, v5
	v_xor_b32_e32 v7, s90, v7
	v_xor_b32_e32 v6, v6, v7
	v_sub_nc_u32_e32 v6, v6, v7
	v_mul_lo_u32 v7, v6, s53
	v_or_b32_e32 v13, v45, v6
	v_or_b32_e32 v14, v44, v6
	;; [unrolled: 1-line block ×3, first 2 shown]
	v_cmp_gt_i32_e64 s39, s50, v6
	v_cmp_eq_u32_e64 s4, v7, v5
	v_add_nc_u32_e32 v7, -2, v5
	v_sub_nc_u32_e32 v5, 2, v5
	s_and_b32 s63, s42, s39
	s_and_b32 s64, s43, s39
	;; [unrolled: 1-line block ×3, first 2 shown]
	v_max_i32_e32 v5, v7, v5
	v_mul_hi_u32 v8, v5, v65
	v_mul_lo_u32 v9, v8, s84
	v_sub_nc_u32_e32 v5, v5, v9
	v_add_nc_u32_e32 v9, 1, v8
	v_cmp_le_u32_e64 s3, s84, v5
	v_cndmask_b32_e64 v8, v8, v9, s3
	v_subrev_nc_u32_e32 v9, s84, v5
	v_cndmask_b32_e64 v5, v5, v9, s3
	v_add_nc_u32_e32 v9, 1, v8
	v_cmp_le_u32_e64 s3, s84, v5
	v_cndmask_b32_e64 v5, v8, v9, s3
	v_ashrrev_i32_e32 v8, 31, v7
	v_add_nc_u32_e32 v9, s55, v69
	v_xor_b32_e32 v8, s90, v8
	v_xor_b32_e32 v5, v5, v8
	v_sub_nc_u32_e32 v5, v5, v8
	v_mul_lo_u32 v8, v5, s53
	v_cmp_gt_i32_e64 s41, s50, v5
	s_and_b32 s87, s42, s41
	s_and_b32 s88, s43, s41
	v_cmp_eq_u32_e64 s3, v8, v7
	v_add_nc_u32_e32 v8, -1, v9
	v_sub_nc_u32_e32 v7, 1, v9
	s_and_b32 s62, s44, s41
	v_max_i32_e32 v7, v8, v7
	s_waitcnt vmcnt(0)
	v_mul_hi_u32 v10, v7, v12
	v_mul_lo_u32 v11, v10, s83
	v_sub_nc_u32_e32 v7, v7, v11
	v_add_nc_u32_e32 v11, 1, v10
	v_cmp_le_u32_e64 s5, s83, v7
	v_cndmask_b32_e64 v10, v10, v11, s5
	v_subrev_nc_u32_e32 v11, s83, v7
	v_cndmask_b32_e64 v7, v7, v11, s5
	v_add_nc_u32_e32 v11, 1, v10
	v_cmp_le_u32_e64 s5, s83, v7
	v_cndmask_b32_e64 v7, v10, v11, s5
	v_ashrrev_i32_e32 v10, 31, v8
	v_xor_b32_e32 v10, s89, v10
	v_xor_b32_e32 v7, v7, v10
	v_sub_nc_u32_e32 v7, v7, v10
	v_mul_lo_u32 v10, v7, s52
	v_cmp_gt_i32_e64 s37, s49, v7
	v_cmp_eq_u32_e64 s20, v10, v8
	v_sub_nc_u32_e32 v8, 0, v9
	v_max_i32_e32 v8, v9, v8
	v_mul_hi_u32 v10, v8, v12
	v_mul_lo_u32 v11, v10, s83
	v_sub_nc_u32_e32 v8, v8, v11
	v_add_nc_u32_e32 v11, 1, v10
	v_cmp_le_u32_e64 s5, s83, v8
	v_cndmask_b32_e64 v10, v10, v11, s5
	v_subrev_nc_u32_e32 v11, s83, v8
	v_cndmask_b32_e64 v8, v8, v11, s5
	v_add_nc_u32_e32 v11, 1, v10
	v_cmp_le_u32_e64 s5, s83, v8
	v_cndmask_b32_e64 v8, v10, v11, s5
	v_ashrrev_i32_e32 v10, 31, v9
	v_xor_b32_e32 v10, s89, v10
	v_xor_b32_e32 v8, v8, v10
	v_sub_nc_u32_e32 v8, v8, v10
	v_mul_lo_u32 v10, v8, s52
	v_cmp_gt_i32_e64 s38, s49, v8
	v_cmp_eq_u32_e64 s11, v10, v9
	v_add_nc_u32_e32 v10, -2, v9
	v_sub_nc_u32_e32 v9, 2, v9
	s_and_b32 s48, s11, s4
	v_max_i32_e32 v9, v10, v9
	v_mul_hi_u32 v11, v9, v12
	v_mul_lo_u32 v12, v11, s83
	v_sub_nc_u32_e32 v9, v9, v12
	v_add_nc_u32_e32 v12, 1, v11
	v_cmp_le_u32_e64 s5, s83, v9
	v_cndmask_b32_e64 v11, v11, v12, s5
	v_subrev_nc_u32_e32 v12, s83, v9
	v_cndmask_b32_e64 v9, v9, v12, s5
	v_add_nc_u32_e32 v12, 1, v11
	v_cmp_le_u32_e64 s5, s83, v9
	v_cndmask_b32_e64 v9, v11, v12, s5
	v_ashrrev_i32_e32 v11, 31, v10
	v_xor_b32_e32 v11, s89, v11
	v_xor_b32_e32 v9, v9, v11
	v_sub_nc_u32_e32 v9, v9, v11
	v_mul_lo_u32 v11, v9, s52
	v_cmp_gt_i32_e64 s28, s49, v9
	v_cmp_eq_u32_e64 s25, v11, v10
	v_mul_lo_u32 v10, s68, v70
	v_ashrrev_i32_e32 v11, 31, v10
	v_lshlrev_b64 v[10:11], 1, v[10:11]
	v_add_co_u32 v73, s5, s66, v10
	v_or_b32_e32 v10, v13, v8
	v_add_co_ci_u32_e64 v74, null, s67, v11, s5
	v_cmp_lt_i32_e64 s7, -1, v10
	v_or_b32_e32 v10, v14, v8
	s_and_b32 s7, s63, s7
	v_cmp_lt_i32_e64 s5, -1, v10
	v_or_b32_e32 v10, v15, v8
	s_and_b32 s93, s7, s38
	s_and_b32 s7, s64, s5
	v_cmp_lt_i32_e64 s6, -1, v10
	v_or_b32_e32 v10, v16, v8
	s_and_b32 s94, s7, s38
	s_and_b32 s5, s48, s0
	;; [unrolled: 1-line block ×3, first 2 shown]
	v_cmp_lt_i32_e64 s10, -1, v10
	v_or_b32_e32 v10, v17, v8
	s_and_b32 s6, s48, vcc_lo
	s_and_b32 s39, s7, s38
	s_and_b32 s7, s48, s1
	;; [unrolled: 1-line block ×3, first 2 shown]
	v_cmp_lt_i32_e64 s8, -1, v10
	v_or_b32_e32 v10, v18, v8
	s_and_b32 s95, s10, s38
	s_and_b32 s48, s11, s2
	;; [unrolled: 1-line block ×3, first 2 shown]
	v_cmp_lt_i32_e64 s9, -1, v10
	v_or_b32_e32 v10, v45, v5
	s_and_b32 s96, s10, s38
	s_and_b32 s8, s48, s0
	;; [unrolled: 1-line block ×3, first 2 shown]
	v_or_b32_e32 v11, v10, v8
	s_and_b32 s9, s48, vcc_lo
	s_and_b32 s40, s10, s38
	s_and_b32 s10, s48, s1
	;; [unrolled: 1-line block ×3, first 2 shown]
	v_cmp_lt_i32_e64 s24, -1, v11
	v_or_b32_e32 v11, v44, v5
	s_and_b32 s11, s48, s0
	s_and_b32 s24, s87, s24
	v_or_b32_e32 v12, v11, v8
	s_and_b32 s42, s24, s38
	s_and_b32 s24, s20, s4
	v_cmp_lt_i32_e64 s12, -1, v12
	v_or_b32_e32 v12, v46, v5
	s_and_b32 s12, s88, s12
	v_or_b32_e32 v19, v12, v8
	v_mul_lo_u32 v8, v8, s50
	s_and_b32 s43, s12, s38
	s_and_b32 s12, s48, vcc_lo
	v_cmp_lt_i32_e64 s13, -1, v19
	v_or_b32_e32 v19, v13, v7
	v_or_b32_e32 v13, v13, v9
	s_and_b32 s13, s62, s13
	v_cmp_lt_i32_e64 s16, -1, v19
	v_or_b32_e32 v19, v14, v7
	v_cmp_lt_i32_e64 s35, -1, v13
	v_or_b32_e32 v13, v14, v9
	v_add_nc_u32_e32 v14, v4, v8
	s_and_b32 s16, s63, s16
	v_cmp_lt_i32_e64 s14, -1, v19
	v_or_b32_e32 v19, v15, v7
	v_cmp_lt_i32_e64 s36, -1, v13
	v_or_b32_e32 v13, v15, v9
	v_add_nc_u32_e32 v15, v5, v8
	v_mul_lo_u32 v14, v14, s51
	v_cmp_lt_i32_e64 s15, -1, v19
	v_or_b32_e32 v19, v16, v7
	v_cmp_lt_i32_e64 s23, -1, v13
	v_or_b32_e32 v13, v16, v9
	v_mul_lo_u32 v21, v15, s51
	s_and_b32 s41, s16, s37
	v_cmp_lt_i32_e64 s19, -1, v19
	v_or_b32_e32 v19, v17, v7
	v_cmp_lt_i32_e64 s26, -1, v13
	v_or_b32_e32 v13, v17, v9
	s_and_b32 s16, s64, s14
	s_and_b32 s19, s79, s19
	v_cmp_lt_i32_e64 s17, -1, v19
	v_or_b32_e32 v19, v18, v7
	v_cmp_lt_i32_e64 s27, -1, v13
	v_or_b32_e32 v13, v18, v9
	s_and_b32 s44, s16, s37
	s_and_b32 s16, s78, s15
	v_cmp_lt_i32_e64 s18, -1, v19
	v_or_b32_e32 v19, v10, v7
	v_or_b32_e32 v10, v10, v9
	v_cmp_lt_i32_e64 s29, -1, v13
	v_add_nc_u32_e32 v13, v6, v8
	s_and_b32 s98, s19, s37
	v_cmp_lt_i32_e64 s22, -1, v19
	v_or_b32_e32 v19, v11, v7
	v_or_b32_e32 v11, v11, v9
	v_mul_lo_u32 v8, v13, s51
	s_and_b32 s19, s75, s17
	v_cmp_lt_i32_e64 s30, -1, v10
	v_cmp_lt_i32_e64 s21, -1, v19
	v_or_b32_e32 v19, v12, v7
	v_or_b32_e32 v12, v12, v9
	v_mul_lo_u32 v9, v9, s50
	v_mul_lo_u32 v7, v7, s50
	v_add_nc_u32_e32 v10, v45, v14
	v_cmp_lt_i32_e64 s34, -1, v19
	v_cmp_lt_i32_e64 s33, -1, v12
	v_add_nc_u32_e32 v12, v44, v14
	v_add_nc_u32_e32 v14, v46, v14
	v_add_nc_u32_e32 v16, v45, v21
	v_add_nc_u32_e32 v38, v6, v9
	v_add_nc_u32_e32 v47, v4, v9
	v_add_nc_u32_e32 v48, v5, v9
	v_add_nc_u32_e32 v20, v6, v7
	v_add_nc_u32_e32 v26, v4, v7
	v_add_nc_u32_e32 v32, v5, v7
	v_mul_lo_u32 v49, v38, s51
	v_mul_lo_u32 v47, v47, s51
	;; [unrolled: 1-line block ×6, first 2 shown]
	v_add_nc_u32_e32 v4, v45, v8
	v_add_nc_u32_e32 v6, v44, v8
	;; [unrolled: 1-line block ×12, first 2 shown]
	s_and_b32 s14, s24, s0
	v_add_nc_u32_e32 v24, v44, v27
	s_and_b32 s15, s24, vcc_lo
	s_and_b32 s97, s16, s37
	v_add_nc_u32_e32 v26, v46, v27
	s_and_b32 s16, s24, s1
	s_and_b32 s24, s20, s2
	v_add_nc_u32_e32 v28, v45, v33
	s_and_b32 s99, s19, s37
	v_add_nc_u32_e32 v30, v44, v33
	;; [unrolled: 2-line block ×4, first 2 shown]
	v_add_nc_u32_e32 v36, v44, v39
	v_add_nc_u32_e32 v38, v46, v39
	;; [unrolled: 1-line block ×5, first 2 shown]
	s_and_b32 s17, s24, s0
	s_and_b32 s18, s24, vcc_lo
	s_and_b32 s104, s19, s37
	s_and_b32 s19, s24, s1
	;; [unrolled: 1-line block ×3, first 2 shown]
	s_and_b32 vcc_hi, s22, s37
	s_and_b32 s21, s88, s21
	s_and_b32 s22, s62, s34
	s_and_b32 s26, s79, s26
	v_ashrrev_i32_e32 v50, 31, v49
	v_ashrrev_i32_e32 v52, 31, v51
	;; [unrolled: 1-line block ×4, first 2 shown]
	s_and_b32 s38, s13, s38
	s_and_b32 s13, s48, s1
	;; [unrolled: 1-line block ×4, first 2 shown]
	s_and_b32 s21, s24, vcc_lo
	s_and_b32 s34, s22, s37
	s_and_b32 s22, s24, s1
	;; [unrolled: 1-line block ×10, first 2 shown]
	v_cmp_lt_i32_e64 s31, -1, v11
	v_ashrrev_i32_e32 v5, 31, v4
	v_ashrrev_i32_e32 v7, 31, v6
	;; [unrolled: 1-line block ×23, first 2 shown]
	s_and_b32 s4, s24, s0
	s_and_b32 s23, s24, vcc_lo
	s_and_b32 s24, s24, s1
	s_and_b32 s2, s63, s0
	;; [unrolled: 1-line block ×3, first 2 shown]
	s_and_b32 s26, s63, vcc_lo
	s_and_b32 s29, s27, s28
	s_and_b32 s27, s63, s1
	;; [unrolled: 1-line block ×3, first 2 shown]
	s_and_b32 vcc_lo, s3, vcc_lo
	s_and_b32 s1, s3, s1
	s_mul_i32 s3, s69, s77
	v_lshlrev_b64 v[44:45], 1, v[49:50]
	v_lshlrev_b64 v[46:47], 1, v[51:52]
	;; [unrolled: 1-line block ×4, first 2 shown]
	v_mul_lo_u32 v58, s3, v71
	s_and_b32 s30, s87, s30
	v_lshlrev_b64 v[4:5], 1, v[4:5]
	v_lshlrev_b64 v[6:7], 1, v[6:7]
	;; [unrolled: 1-line block ×23, first 2 shown]
	s_and_b32 s36, s64, s36
	s_and_b32 s25, s30, s28
	;; [unrolled: 1-line block ×9, first 2 shown]
	s_branch .LBB28_7
.LBB28_6:                               ;   in Loop: Header=BB28_7 Depth=2
	s_or_b32 exec_lo, exec_lo, s31
	s_waitcnt vmcnt(26)
	v_lshlrev_b32_e32 v77, 16, v77
	s_waitcnt vmcnt(2)
	v_lshlrev_b32_e32 v60, 16, v60
	v_add_nc_u32_e32 v72, 1, v72
	v_add_co_u32 v2, s3, v2, 54
	v_fma_f32 v59, v59, v77, v76
	v_add_co_ci_u32_e64 v3, null, 0, v3, s3
	v_cmp_ge_i32_e64 s3, v72, v75
	v_add_nc_u32_e32 v58, s69, v58
	v_cndmask_b32_e64 v59, v76, v59, s5
	v_lshlrev_b32_e32 v76, 16, v80
	s_or_b32 s92, s3, s92
	v_fma_f32 v76, v82, v76, v59
	v_cndmask_b32_e64 v59, v59, v76, s6
	v_lshlrev_b32_e32 v76, 16, v83
	v_fma_f32 v76, v81, v76, v59
	v_cndmask_b32_e64 v59, v59, v76, s7
	v_lshlrev_b32_e32 v76, 16, v84
	;; [unrolled: 3-line block ×22, first 2 shown]
	v_fma_f32 v76, v126, v76, v59
	v_cndmask_b32_e64 v59, v59, v76, s27
	v_fma_f32 v60, v123, v60, v59
	v_cndmask_b32_e64 v59, v59, v60, s0
	s_waitcnt vmcnt(1)
	v_lshlrev_b32_e32 v60, 16, v62
	v_fma_f32 v60, v63, v60, v59
	v_cndmask_b32_e32 v59, v59, v60, vcc_lo
	s_waitcnt vmcnt(0)
	v_lshlrev_b32_e32 v60, 16, v64
	v_fma_f32 v60, v61, v60, v59
	v_cndmask_b32_e64 v76, v59, v60, s1
	s_andn2_b32 exec_lo, exec_lo, s92
	s_cbranch_execz .LBB28_2
.LBB28_7:                               ;   Parent Loop BB28_4 Depth=1
                                        ; =>  This Inner Loop Header: Depth=2
	global_load_ushort v77, v[2:3], off
	v_ashrrev_i32_e32 v59, 31, v58
	v_lshlrev_b64 v[59:60], 1, v[58:59]
	v_add_co_u32 v78, s3, v73, v59
	v_add_co_ci_u32_e64 v79, null, v74, v60, s3
	v_mov_b32_e32 v59, 0
	s_and_saveexec_b32 s31, s93
	s_cbranch_execz .LBB28_9
; %bb.8:                                ;   in Loop: Header=BB28_7 Depth=2
	v_add_co_u32 v59, s3, v78, v4
	v_add_co_ci_u32_e64 v60, null, v79, v5, s3
	global_load_ushort v59, v[59:60], off
	s_waitcnt vmcnt(0)
	v_lshlrev_b32_e32 v59, 16, v59
.LBB28_9:                               ;   in Loop: Header=BB28_7 Depth=2
	s_or_b32 exec_lo, exec_lo, s31
	global_load_ushort v80, v[2:3], off offset:2
	v_mov_b32_e32 v81, 0
	v_mov_b32_e32 v82, 0
	s_and_saveexec_b32 s31, s94
	s_cbranch_execz .LBB28_11
; %bb.10:                               ;   in Loop: Header=BB28_7 Depth=2
	v_add_co_u32 v60, s3, v78, v6
	v_add_co_ci_u32_e64 v61, null, v79, v7, s3
	global_load_ushort v60, v[60:61], off
	s_waitcnt vmcnt(0)
	v_lshlrev_b32_e32 v82, 16, v60
.LBB28_11:                              ;   in Loop: Header=BB28_7 Depth=2
	s_or_b32 exec_lo, exec_lo, s31
	global_load_ushort v83, v[2:3], off offset:4
	s_and_saveexec_b32 s31, s39
	s_cbranch_execz .LBB28_13
; %bb.12:                               ;   in Loop: Header=BB28_7 Depth=2
	v_add_co_u32 v60, s3, v78, v8
	v_add_co_ci_u32_e64 v61, null, v79, v9, s3
	global_load_ushort v60, v[60:61], off
	s_waitcnt vmcnt(0)
	v_lshlrev_b32_e32 v81, 16, v60
.LBB28_13:                              ;   in Loop: Header=BB28_7 Depth=2
	s_or_b32 exec_lo, exec_lo, s31
	global_load_ushort v84, v[2:3], off offset:6
	v_mov_b32_e32 v85, 0
	v_mov_b32_e32 v86, 0
	s_and_saveexec_b32 s31, s95
	s_cbranch_execz .LBB28_15
; %bb.14:                               ;   in Loop: Header=BB28_7 Depth=2
	v_add_co_u32 v60, s3, v78, v10
	v_add_co_ci_u32_e64 v61, null, v79, v11, s3
	global_load_ushort v60, v[60:61], off
	s_waitcnt vmcnt(0)
	v_lshlrev_b32_e32 v86, 16, v60
.LBB28_15:                              ;   in Loop: Header=BB28_7 Depth=2
	s_or_b32 exec_lo, exec_lo, s31
	global_load_ushort v87, v[2:3], off offset:8
	s_and_saveexec_b32 s31, s96
	s_cbranch_execz .LBB28_17
; %bb.16:                               ;   in Loop: Header=BB28_7 Depth=2
	v_add_co_u32 v60, s3, v78, v12
	v_add_co_ci_u32_e64 v61, null, v79, v13, s3
	global_load_ushort v60, v[60:61], off
	s_waitcnt vmcnt(0)
	v_lshlrev_b32_e32 v85, 16, v60
.LBB28_17:                              ;   in Loop: Header=BB28_7 Depth=2
	s_or_b32 exec_lo, exec_lo, s31
	global_load_ushort v88, v[2:3], off offset:10
	v_mov_b32_e32 v89, 0
	v_mov_b32_e32 v90, 0
	s_and_saveexec_b32 s31, s40
	s_cbranch_execz .LBB28_19
; %bb.18:                               ;   in Loop: Header=BB28_7 Depth=2
	v_add_co_u32 v60, s3, v78, v14
	v_add_co_ci_u32_e64 v61, null, v79, v15, s3
	global_load_ushort v60, v[60:61], off
	s_waitcnt vmcnt(0)
	v_lshlrev_b32_e32 v90, 16, v60
.LBB28_19:                              ;   in Loop: Header=BB28_7 Depth=2
	s_or_b32 exec_lo, exec_lo, s31
	global_load_ushort v91, v[2:3], off offset:12
	s_and_saveexec_b32 s31, s42
	s_cbranch_execz .LBB28_21
; %bb.20:                               ;   in Loop: Header=BB28_7 Depth=2
	v_add_co_u32 v60, s3, v78, v16
	v_add_co_ci_u32_e64 v61, null, v79, v17, s3
	global_load_ushort v60, v[60:61], off
	s_waitcnt vmcnt(0)
	v_lshlrev_b32_e32 v89, 16, v60
.LBB28_21:                              ;   in Loop: Header=BB28_7 Depth=2
	s_or_b32 exec_lo, exec_lo, s31
	global_load_ushort v92, v[2:3], off offset:14
	v_mov_b32_e32 v93, 0
	v_mov_b32_e32 v94, 0
	s_and_saveexec_b32 s31, s43
	s_cbranch_execz .LBB28_23
; %bb.22:                               ;   in Loop: Header=BB28_7 Depth=2
	v_add_co_u32 v60, s3, v78, v18
	v_add_co_ci_u32_e64 v61, null, v79, v19, s3
	global_load_ushort v60, v[60:61], off
	s_waitcnt vmcnt(0)
	v_lshlrev_b32_e32 v94, 16, v60
.LBB28_23:                              ;   in Loop: Header=BB28_7 Depth=2
	s_or_b32 exec_lo, exec_lo, s31
	global_load_ushort v95, v[2:3], off offset:16
	s_and_saveexec_b32 s31, s38
	s_cbranch_execz .LBB28_25
; %bb.24:                               ;   in Loop: Header=BB28_7 Depth=2
	v_add_co_u32 v60, s3, v78, v20
	v_add_co_ci_u32_e64 v61, null, v79, v21, s3
	global_load_ushort v60, v[60:61], off
	s_waitcnt vmcnt(0)
	v_lshlrev_b32_e32 v93, 16, v60
.LBB28_25:                              ;   in Loop: Header=BB28_7 Depth=2
	s_or_b32 exec_lo, exec_lo, s31
	global_load_ushort v96, v[2:3], off offset:18
	v_mov_b32_e32 v97, 0
	v_mov_b32_e32 v98, 0
	s_and_saveexec_b32 s31, s41
	s_cbranch_execz .LBB28_27
; %bb.26:                               ;   in Loop: Header=BB28_7 Depth=2
	v_add_co_u32 v60, s3, v78, v22
	v_add_co_ci_u32_e64 v61, null, v79, v23, s3
	global_load_ushort v60, v[60:61], off
	s_waitcnt vmcnt(0)
	v_lshlrev_b32_e32 v98, 16, v60
.LBB28_27:                              ;   in Loop: Header=BB28_7 Depth=2
	s_or_b32 exec_lo, exec_lo, s31
	global_load_ushort v99, v[2:3], off offset:20
	s_and_saveexec_b32 s31, s44
	s_cbranch_execz .LBB28_29
; %bb.28:                               ;   in Loop: Header=BB28_7 Depth=2
	v_add_co_u32 v60, s3, v78, v24
	v_add_co_ci_u32_e64 v61, null, v79, v25, s3
	global_load_ushort v60, v[60:61], off
	s_waitcnt vmcnt(0)
	v_lshlrev_b32_e32 v97, 16, v60
.LBB28_29:                              ;   in Loop: Header=BB28_7 Depth=2
	s_or_b32 exec_lo, exec_lo, s31
	global_load_ushort v100, v[2:3], off offset:22
	v_mov_b32_e32 v101, 0
	v_mov_b32_e32 v102, 0
	s_and_saveexec_b32 s31, s97
	s_cbranch_execz .LBB28_31
; %bb.30:                               ;   in Loop: Header=BB28_7 Depth=2
	v_add_co_u32 v60, s3, v78, v26
	v_add_co_ci_u32_e64 v61, null, v79, v27, s3
	global_load_ushort v60, v[60:61], off
	s_waitcnt vmcnt(0)
	v_lshlrev_b32_e32 v102, 16, v60
.LBB28_31:                              ;   in Loop: Header=BB28_7 Depth=2
	s_or_b32 exec_lo, exec_lo, s31
	global_load_ushort v103, v[2:3], off offset:24
	s_and_saveexec_b32 s31, s98
	s_cbranch_execz .LBB28_33
; %bb.32:                               ;   in Loop: Header=BB28_7 Depth=2
	v_add_co_u32 v60, s3, v78, v28
	v_add_co_ci_u32_e64 v61, null, v79, v29, s3
	global_load_ushort v60, v[60:61], off
	s_waitcnt vmcnt(0)
	v_lshlrev_b32_e32 v101, 16, v60
.LBB28_33:                              ;   in Loop: Header=BB28_7 Depth=2
	s_or_b32 exec_lo, exec_lo, s31
	global_load_ushort v104, v[2:3], off offset:26
	v_mov_b32_e32 v105, 0
	v_mov_b32_e32 v106, 0
	s_and_saveexec_b32 s31, s99
	s_cbranch_execz .LBB28_35
; %bb.34:                               ;   in Loop: Header=BB28_7 Depth=2
	v_add_co_u32 v60, s3, v78, v30
	v_add_co_ci_u32_e64 v61, null, v79, v31, s3
	global_load_ushort v60, v[60:61], off
	s_waitcnt vmcnt(0)
	v_lshlrev_b32_e32 v106, 16, v60
.LBB28_35:                              ;   in Loop: Header=BB28_7 Depth=2
	s_or_b32 exec_lo, exec_lo, s31
	global_load_ushort v107, v[2:3], off offset:28
	s_and_saveexec_b32 s31, s104
	s_cbranch_execz .LBB28_37
; %bb.36:                               ;   in Loop: Header=BB28_7 Depth=2
	v_add_co_u32 v60, s3, v78, v32
	v_add_co_ci_u32_e64 v61, null, v79, v33, s3
	global_load_ushort v60, v[60:61], off
	s_waitcnt vmcnt(0)
	v_lshlrev_b32_e32 v105, 16, v60
.LBB28_37:                              ;   in Loop: Header=BB28_7 Depth=2
	s_or_b32 exec_lo, exec_lo, s31
	global_load_ushort v108, v[2:3], off offset:30
	v_mov_b32_e32 v109, 0
	v_mov_b32_e32 v110, 0
	s_and_saveexec_b32 s31, vcc_hi
	s_cbranch_execz .LBB28_39
; %bb.38:                               ;   in Loop: Header=BB28_7 Depth=2
	v_add_co_u32 v60, s3, v78, v34
	v_add_co_ci_u32_e64 v61, null, v79, v35, s3
	global_load_ushort v60, v[60:61], off
	s_waitcnt vmcnt(0)
	v_lshlrev_b32_e32 v110, 16, v60
.LBB28_39:                              ;   in Loop: Header=BB28_7 Depth=2
	s_or_b32 exec_lo, exec_lo, s31
	global_load_ushort v111, v[2:3], off offset:32
	s_and_saveexec_b32 s31, s48
	s_cbranch_execz .LBB28_41
; %bb.40:                               ;   in Loop: Header=BB28_7 Depth=2
	v_add_co_u32 v60, s3, v78, v36
	v_add_co_ci_u32_e64 v61, null, v79, v37, s3
	global_load_ushort v60, v[60:61], off
	s_waitcnt vmcnt(0)
	v_lshlrev_b32_e32 v109, 16, v60
.LBB28_41:                              ;   in Loop: Header=BB28_7 Depth=2
	s_or_b32 exec_lo, exec_lo, s31
	global_load_ushort v113, v[2:3], off offset:34
	v_mov_b32_e32 v112, 0
	v_mov_b32_e32 v114, 0
	s_and_saveexec_b32 s31, s34
	s_cbranch_execz .LBB28_43
; %bb.42:                               ;   in Loop: Header=BB28_7 Depth=2
	v_add_co_u32 v60, s3, v78, v38
	v_add_co_ci_u32_e64 v61, null, v79, v39, s3
	global_load_ushort v60, v[60:61], off
	s_waitcnt vmcnt(0)
	v_lshlrev_b32_e32 v114, 16, v60
.LBB28_43:                              ;   in Loop: Header=BB28_7 Depth=2
	s_or_b32 exec_lo, exec_lo, s31
	global_load_ushort v115, v[2:3], off offset:36
	s_and_saveexec_b32 s31, s35
	s_cbranch_execz .LBB28_45
; %bb.44:                               ;   in Loop: Header=BB28_7 Depth=2
	v_add_co_u32 v60, s3, v78, v40
	v_add_co_ci_u32_e64 v61, null, v79, v41, s3
	global_load_ushort v60, v[60:61], off
	s_waitcnt vmcnt(0)
	v_lshlrev_b32_e32 v112, 16, v60
.LBB28_45:                              ;   in Loop: Header=BB28_7 Depth=2
	s_or_b32 exec_lo, exec_lo, s31
	global_load_ushort v117, v[2:3], off offset:38
	v_mov_b32_e32 v116, 0
	v_mov_b32_e32 v118, 0
	s_and_saveexec_b32 s31, s36
	s_cbranch_execz .LBB28_47
; %bb.46:                               ;   in Loop: Header=BB28_7 Depth=2
	v_add_co_u32 v60, s3, v78, v42
	v_add_co_ci_u32_e64 v61, null, v79, v43, s3
	global_load_ushort v60, v[60:61], off
	s_waitcnt vmcnt(0)
	v_lshlrev_b32_e32 v118, 16, v60
.LBB28_47:                              ;   in Loop: Header=BB28_7 Depth=2
	s_or_b32 exec_lo, exec_lo, s31
	global_load_ushort v120, v[2:3], off offset:40
	s_and_saveexec_b32 s31, s37
	s_cbranch_execz .LBB28_49
; %bb.48:                               ;   in Loop: Header=BB28_7 Depth=2
	v_add_co_u32 v60, s3, v78, v44
	v_add_co_ci_u32_e64 v61, null, v79, v45, s3
	global_load_ushort v60, v[60:61], off
	s_waitcnt vmcnt(0)
	v_lshlrev_b32_e32 v116, 16, v60
.LBB28_49:                              ;   in Loop: Header=BB28_7 Depth=2
	s_or_b32 exec_lo, exec_lo, s31
	global_load_ushort v121, v[2:3], off offset:42
	v_mov_b32_e32 v119, 0
	v_mov_b32_e32 v122, 0
	s_and_saveexec_b32 s31, s78
	s_cbranch_execz .LBB28_51
; %bb.50:                               ;   in Loop: Header=BB28_7 Depth=2
	v_add_co_u32 v60, s3, v78, v46
	v_add_co_ci_u32_e64 v61, null, v79, v47, s3
	global_load_ushort v60, v[60:61], off
	s_waitcnt vmcnt(0)
	v_lshlrev_b32_e32 v122, 16, v60
.LBB28_51:                              ;   in Loop: Header=BB28_7 Depth=2
	s_or_b32 exec_lo, exec_lo, s31
	global_load_ushort v124, v[2:3], off offset:44
	s_and_saveexec_b32 s31, s79
	s_cbranch_execz .LBB28_53
; %bb.52:                               ;   in Loop: Header=BB28_7 Depth=2
	v_add_co_u32 v60, s3, v78, v48
	v_add_co_ci_u32_e64 v61, null, v79, v49, s3
	global_load_ushort v60, v[60:61], off
	s_waitcnt vmcnt(0)
	v_lshlrev_b32_e32 v119, 16, v60
.LBB28_53:                              ;   in Loop: Header=BB28_7 Depth=2
	s_or_b32 exec_lo, exec_lo, s31
	global_load_ushort v125, v[2:3], off offset:46
	v_mov_b32_e32 v123, 0
	v_mov_b32_e32 v126, 0
	s_and_saveexec_b32 s31, s29
	s_cbranch_execz .LBB28_55
; %bb.54:                               ;   in Loop: Header=BB28_7 Depth=2
	v_add_co_u32 v60, s3, v78, v50
	v_add_co_ci_u32_e64 v61, null, v79, v51, s3
	global_load_ushort v60, v[60:61], off
	s_waitcnt vmcnt(0)
	v_lshlrev_b32_e32 v126, 16, v60
.LBB28_55:                              ;   in Loop: Header=BB28_7 Depth=2
	s_or_b32 exec_lo, exec_lo, s31
	global_load_ushort v60, v[2:3], off offset:48
	s_and_saveexec_b32 s31, s25
	s_cbranch_execz .LBB28_57
; %bb.56:                               ;   in Loop: Header=BB28_7 Depth=2
	v_add_co_u32 v61, s3, v78, v52
	v_add_co_ci_u32_e64 v62, null, v79, v53, s3
	global_load_ushort v61, v[61:62], off
	s_waitcnt vmcnt(0)
	v_lshlrev_b32_e32 v123, 16, v61
.LBB28_57:                              ;   in Loop: Header=BB28_7 Depth=2
	s_or_b32 exec_lo, exec_lo, s31
	global_load_ushort v62, v[2:3], off offset:50
	v_mov_b32_e32 v61, 0
	v_mov_b32_e32 v63, 0
	s_and_saveexec_b32 s31, s30
	s_cbranch_execz .LBB28_59
; %bb.58:                               ;   in Loop: Header=BB28_7 Depth=2
	v_add_co_u32 v63, s3, v78, v54
	v_add_co_ci_u32_e64 v64, null, v79, v55, s3
	global_load_ushort v63, v[63:64], off
	s_waitcnt vmcnt(0)
	v_lshlrev_b32_e32 v63, 16, v63
.LBB28_59:                              ;   in Loop: Header=BB28_7 Depth=2
	s_or_b32 exec_lo, exec_lo, s31
	global_load_ushort v64, v[2:3], off offset:52
	s_and_saveexec_b32 s31, s28
	s_cbranch_execz .LBB28_6
; %bb.60:                               ;   in Loop: Header=BB28_7 Depth=2
	v_add_co_u32 v78, s3, v78, v56
	v_add_co_ci_u32_e64 v79, null, v79, v57, s3
	global_load_ushort v61, v[78:79], off
	s_waitcnt vmcnt(0)
	v_lshlrev_b32_e32 v61, 16, v61
	s_branch .LBB28_6
.LBB28_61:                              ;   in Loop: Header=BB28_4 Depth=1
	v_mov_b32_e32 v76, 0
	s_branch .LBB28_3
.LBB28_62:
	s_endpgm
	.section	.rodata,"a",@progbits
	.p2align	6, 0x0
	.amdhsa_kernel _ZN2at6native12_GLOBAL__N_143conv_depthwise3d_cuda_backward_input_kernelIN3c108BFloat16EfLi3ELi3ELi3ELi1ELi1ELi1ELin1ELin1ELin1EEEvN5torch10headeronly6detail27GenericPackedTensorAccessorINS7_14TensorAccessorINS3_8ArrayRefIlEEKT_Lm4ENS6_16DefaultPtrTraitsEiEENS_6detail16IndexBoundsCheckILm5EiEESD_Lm5ESE_iEENS8_INS9_ISB_SC_Lm4ESE_iEESI_SC_Lm5ESE_iEESJ_iiiiiiiii
		.amdhsa_group_segment_fixed_size 0
		.amdhsa_private_segment_fixed_size 24
		.amdhsa_kernarg_size 440
		.amdhsa_user_sgpr_count 6
		.amdhsa_user_sgpr_private_segment_buffer 1
		.amdhsa_user_sgpr_dispatch_ptr 0
		.amdhsa_user_sgpr_queue_ptr 0
		.amdhsa_user_sgpr_kernarg_segment_ptr 1
		.amdhsa_user_sgpr_dispatch_id 0
		.amdhsa_user_sgpr_flat_scratch_init 0
		.amdhsa_user_sgpr_private_segment_size 0
		.amdhsa_wavefront_size32 1
		.amdhsa_uses_dynamic_stack 0
		.amdhsa_system_sgpr_private_segment_wavefront_offset 1
		.amdhsa_system_sgpr_workgroup_id_x 1
		.amdhsa_system_sgpr_workgroup_id_y 0
		.amdhsa_system_sgpr_workgroup_id_z 0
		.amdhsa_system_sgpr_workgroup_info 0
		.amdhsa_system_vgpr_workitem_id 0
		.amdhsa_next_free_vgpr 128
		.amdhsa_next_free_sgpr 105
		.amdhsa_reserve_vcc 1
		.amdhsa_reserve_flat_scratch 0
		.amdhsa_float_round_mode_32 0
		.amdhsa_float_round_mode_16_64 0
		.amdhsa_float_denorm_mode_32 3
		.amdhsa_float_denorm_mode_16_64 3
		.amdhsa_dx10_clamp 1
		.amdhsa_ieee_mode 1
		.amdhsa_fp16_overflow 0
		.amdhsa_workgroup_processor_mode 1
		.amdhsa_memory_ordered 1
		.amdhsa_forward_progress 1
		.amdhsa_shared_vgpr_count 0
		.amdhsa_exception_fp_ieee_invalid_op 0
		.amdhsa_exception_fp_denorm_src 0
		.amdhsa_exception_fp_ieee_div_zero 0
		.amdhsa_exception_fp_ieee_overflow 0
		.amdhsa_exception_fp_ieee_underflow 0
		.amdhsa_exception_fp_ieee_inexact 0
		.amdhsa_exception_int_div_zero 0
	.end_amdhsa_kernel
	.section	.text._ZN2at6native12_GLOBAL__N_143conv_depthwise3d_cuda_backward_input_kernelIN3c108BFloat16EfLi3ELi3ELi3ELi1ELi1ELi1ELin1ELin1ELin1EEEvN5torch10headeronly6detail27GenericPackedTensorAccessorINS7_14TensorAccessorINS3_8ArrayRefIlEEKT_Lm4ENS6_16DefaultPtrTraitsEiEENS_6detail16IndexBoundsCheckILm5EiEESD_Lm5ESE_iEENS8_INS9_ISB_SC_Lm4ESE_iEESI_SC_Lm5ESE_iEESJ_iiiiiiiii,"axG",@progbits,_ZN2at6native12_GLOBAL__N_143conv_depthwise3d_cuda_backward_input_kernelIN3c108BFloat16EfLi3ELi3ELi3ELi1ELi1ELi1ELin1ELin1ELin1EEEvN5torch10headeronly6detail27GenericPackedTensorAccessorINS7_14TensorAccessorINS3_8ArrayRefIlEEKT_Lm4ENS6_16DefaultPtrTraitsEiEENS_6detail16IndexBoundsCheckILm5EiEESD_Lm5ESE_iEENS8_INS9_ISB_SC_Lm4ESE_iEESI_SC_Lm5ESE_iEESJ_iiiiiiiii,comdat
.Lfunc_end28:
	.size	_ZN2at6native12_GLOBAL__N_143conv_depthwise3d_cuda_backward_input_kernelIN3c108BFloat16EfLi3ELi3ELi3ELi1ELi1ELi1ELin1ELin1ELin1EEEvN5torch10headeronly6detail27GenericPackedTensorAccessorINS7_14TensorAccessorINS3_8ArrayRefIlEEKT_Lm4ENS6_16DefaultPtrTraitsEiEENS_6detail16IndexBoundsCheckILm5EiEESD_Lm5ESE_iEENS8_INS9_ISB_SC_Lm4ESE_iEESI_SC_Lm5ESE_iEESJ_iiiiiiiii, .Lfunc_end28-_ZN2at6native12_GLOBAL__N_143conv_depthwise3d_cuda_backward_input_kernelIN3c108BFloat16EfLi3ELi3ELi3ELi1ELi1ELi1ELin1ELin1ELin1EEEvN5torch10headeronly6detail27GenericPackedTensorAccessorINS7_14TensorAccessorINS3_8ArrayRefIlEEKT_Lm4ENS6_16DefaultPtrTraitsEiEENS_6detail16IndexBoundsCheckILm5EiEESD_Lm5ESE_iEENS8_INS9_ISB_SC_Lm4ESE_iEESI_SC_Lm5ESE_iEESJ_iiiiiiiii
                                        ; -- End function
	.set _ZN2at6native12_GLOBAL__N_143conv_depthwise3d_cuda_backward_input_kernelIN3c108BFloat16EfLi3ELi3ELi3ELi1ELi1ELi1ELin1ELin1ELin1EEEvN5torch10headeronly6detail27GenericPackedTensorAccessorINS7_14TensorAccessorINS3_8ArrayRefIlEEKT_Lm4ENS6_16DefaultPtrTraitsEiEENS_6detail16IndexBoundsCheckILm5EiEESD_Lm5ESE_iEENS8_INS9_ISB_SC_Lm4ESE_iEESI_SC_Lm5ESE_iEESJ_iiiiiiiii.num_vgpr, 128
	.set _ZN2at6native12_GLOBAL__N_143conv_depthwise3d_cuda_backward_input_kernelIN3c108BFloat16EfLi3ELi3ELi3ELi1ELi1ELi1ELin1ELin1ELin1EEEvN5torch10headeronly6detail27GenericPackedTensorAccessorINS7_14TensorAccessorINS3_8ArrayRefIlEEKT_Lm4ENS6_16DefaultPtrTraitsEiEENS_6detail16IndexBoundsCheckILm5EiEESD_Lm5ESE_iEENS8_INS9_ISB_SC_Lm4ESE_iEESI_SC_Lm5ESE_iEESJ_iiiiiiiii.num_agpr, 0
	.set _ZN2at6native12_GLOBAL__N_143conv_depthwise3d_cuda_backward_input_kernelIN3c108BFloat16EfLi3ELi3ELi3ELi1ELi1ELi1ELin1ELin1ELin1EEEvN5torch10headeronly6detail27GenericPackedTensorAccessorINS7_14TensorAccessorINS3_8ArrayRefIlEEKT_Lm4ENS6_16DefaultPtrTraitsEiEENS_6detail16IndexBoundsCheckILm5EiEESD_Lm5ESE_iEENS8_INS9_ISB_SC_Lm4ESE_iEESI_SC_Lm5ESE_iEESJ_iiiiiiiii.numbered_sgpr, 105
	.set _ZN2at6native12_GLOBAL__N_143conv_depthwise3d_cuda_backward_input_kernelIN3c108BFloat16EfLi3ELi3ELi3ELi1ELi1ELi1ELin1ELin1ELin1EEEvN5torch10headeronly6detail27GenericPackedTensorAccessorINS7_14TensorAccessorINS3_8ArrayRefIlEEKT_Lm4ENS6_16DefaultPtrTraitsEiEENS_6detail16IndexBoundsCheckILm5EiEESD_Lm5ESE_iEENS8_INS9_ISB_SC_Lm4ESE_iEESI_SC_Lm5ESE_iEESJ_iiiiiiiii.num_named_barrier, 0
	.set _ZN2at6native12_GLOBAL__N_143conv_depthwise3d_cuda_backward_input_kernelIN3c108BFloat16EfLi3ELi3ELi3ELi1ELi1ELi1ELin1ELin1ELin1EEEvN5torch10headeronly6detail27GenericPackedTensorAccessorINS7_14TensorAccessorINS3_8ArrayRefIlEEKT_Lm4ENS6_16DefaultPtrTraitsEiEENS_6detail16IndexBoundsCheckILm5EiEESD_Lm5ESE_iEENS8_INS9_ISB_SC_Lm4ESE_iEESI_SC_Lm5ESE_iEESJ_iiiiiiiii.private_seg_size, 24
	.set _ZN2at6native12_GLOBAL__N_143conv_depthwise3d_cuda_backward_input_kernelIN3c108BFloat16EfLi3ELi3ELi3ELi1ELi1ELi1ELin1ELin1ELin1EEEvN5torch10headeronly6detail27GenericPackedTensorAccessorINS7_14TensorAccessorINS3_8ArrayRefIlEEKT_Lm4ENS6_16DefaultPtrTraitsEiEENS_6detail16IndexBoundsCheckILm5EiEESD_Lm5ESE_iEENS8_INS9_ISB_SC_Lm4ESE_iEESI_SC_Lm5ESE_iEESJ_iiiiiiiii.uses_vcc, 1
	.set _ZN2at6native12_GLOBAL__N_143conv_depthwise3d_cuda_backward_input_kernelIN3c108BFloat16EfLi3ELi3ELi3ELi1ELi1ELi1ELin1ELin1ELin1EEEvN5torch10headeronly6detail27GenericPackedTensorAccessorINS7_14TensorAccessorINS3_8ArrayRefIlEEKT_Lm4ENS6_16DefaultPtrTraitsEiEENS_6detail16IndexBoundsCheckILm5EiEESD_Lm5ESE_iEENS8_INS9_ISB_SC_Lm4ESE_iEESI_SC_Lm5ESE_iEESJ_iiiiiiiii.uses_flat_scratch, 0
	.set _ZN2at6native12_GLOBAL__N_143conv_depthwise3d_cuda_backward_input_kernelIN3c108BFloat16EfLi3ELi3ELi3ELi1ELi1ELi1ELin1ELin1ELin1EEEvN5torch10headeronly6detail27GenericPackedTensorAccessorINS7_14TensorAccessorINS3_8ArrayRefIlEEKT_Lm4ENS6_16DefaultPtrTraitsEiEENS_6detail16IndexBoundsCheckILm5EiEESD_Lm5ESE_iEENS8_INS9_ISB_SC_Lm4ESE_iEESI_SC_Lm5ESE_iEESJ_iiiiiiiii.has_dyn_sized_stack, 0
	.set _ZN2at6native12_GLOBAL__N_143conv_depthwise3d_cuda_backward_input_kernelIN3c108BFloat16EfLi3ELi3ELi3ELi1ELi1ELi1ELin1ELin1ELin1EEEvN5torch10headeronly6detail27GenericPackedTensorAccessorINS7_14TensorAccessorINS3_8ArrayRefIlEEKT_Lm4ENS6_16DefaultPtrTraitsEiEENS_6detail16IndexBoundsCheckILm5EiEESD_Lm5ESE_iEENS8_INS9_ISB_SC_Lm4ESE_iEESI_SC_Lm5ESE_iEESJ_iiiiiiiii.has_recursion, 0
	.set _ZN2at6native12_GLOBAL__N_143conv_depthwise3d_cuda_backward_input_kernelIN3c108BFloat16EfLi3ELi3ELi3ELi1ELi1ELi1ELin1ELin1ELin1EEEvN5torch10headeronly6detail27GenericPackedTensorAccessorINS7_14TensorAccessorINS3_8ArrayRefIlEEKT_Lm4ENS6_16DefaultPtrTraitsEiEENS_6detail16IndexBoundsCheckILm5EiEESD_Lm5ESE_iEENS8_INS9_ISB_SC_Lm4ESE_iEESI_SC_Lm5ESE_iEESJ_iiiiiiiii.has_indirect_call, 0
	.section	.AMDGPU.csdata,"",@progbits
; Kernel info:
; codeLenInByte = 6216
; TotalNumSgprs: 107
; NumVgprs: 128
; ScratchSize: 24
; MemoryBound: 0
; FloatMode: 240
; IeeeMode: 1
; LDSByteSize: 0 bytes/workgroup (compile time only)
; SGPRBlocks: 0
; VGPRBlocks: 15
; NumSGPRsForWavesPerEU: 107
; NumVGPRsForWavesPerEU: 128
; Occupancy: 8
; WaveLimiterHint : 0
; COMPUTE_PGM_RSRC2:SCRATCH_EN: 1
; COMPUTE_PGM_RSRC2:USER_SGPR: 6
; COMPUTE_PGM_RSRC2:TRAP_HANDLER: 0
; COMPUTE_PGM_RSRC2:TGID_X_EN: 1
; COMPUTE_PGM_RSRC2:TGID_Y_EN: 0
; COMPUTE_PGM_RSRC2:TGID_Z_EN: 0
; COMPUTE_PGM_RSRC2:TIDIG_COMP_CNT: 0
	.section	.text._ZN2at6native12_GLOBAL__N_143conv_depthwise3d_cuda_backward_input_kernelIN3c108BFloat16EfLi3ELi3ELi3ELin1ELin1ELin1ELi1ELi1ELi1EEEvN5torch10headeronly6detail27GenericPackedTensorAccessorINS7_14TensorAccessorINS3_8ArrayRefIlEEKT_Lm4ENS6_16DefaultPtrTraitsEiEENS_6detail16IndexBoundsCheckILm5EiEESD_Lm5ESE_iEENS8_INS9_ISB_SC_Lm4ESE_iEESI_SC_Lm5ESE_iEESJ_iiiiiiiii,"axG",@progbits,_ZN2at6native12_GLOBAL__N_143conv_depthwise3d_cuda_backward_input_kernelIN3c108BFloat16EfLi3ELi3ELi3ELin1ELin1ELin1ELi1ELi1ELi1EEEvN5torch10headeronly6detail27GenericPackedTensorAccessorINS7_14TensorAccessorINS3_8ArrayRefIlEEKT_Lm4ENS6_16DefaultPtrTraitsEiEENS_6detail16IndexBoundsCheckILm5EiEESD_Lm5ESE_iEENS8_INS9_ISB_SC_Lm4ESE_iEESI_SC_Lm5ESE_iEESJ_iiiiiiiii,comdat
	.globl	_ZN2at6native12_GLOBAL__N_143conv_depthwise3d_cuda_backward_input_kernelIN3c108BFloat16EfLi3ELi3ELi3ELin1ELin1ELin1ELi1ELi1ELi1EEEvN5torch10headeronly6detail27GenericPackedTensorAccessorINS7_14TensorAccessorINS3_8ArrayRefIlEEKT_Lm4ENS6_16DefaultPtrTraitsEiEENS_6detail16IndexBoundsCheckILm5EiEESD_Lm5ESE_iEENS8_INS9_ISB_SC_Lm4ESE_iEESI_SC_Lm5ESE_iEESJ_iiiiiiiii ; -- Begin function _ZN2at6native12_GLOBAL__N_143conv_depthwise3d_cuda_backward_input_kernelIN3c108BFloat16EfLi3ELi3ELi3ELin1ELin1ELin1ELi1ELi1ELi1EEEvN5torch10headeronly6detail27GenericPackedTensorAccessorINS7_14TensorAccessorINS3_8ArrayRefIlEEKT_Lm4ENS6_16DefaultPtrTraitsEiEENS_6detail16IndexBoundsCheckILm5EiEESD_Lm5ESE_iEENS8_INS9_ISB_SC_Lm4ESE_iEESI_SC_Lm5ESE_iEESJ_iiiiiiiii
	.p2align	8
	.type	_ZN2at6native12_GLOBAL__N_143conv_depthwise3d_cuda_backward_input_kernelIN3c108BFloat16EfLi3ELi3ELi3ELin1ELin1ELin1ELi1ELi1ELi1EEEvN5torch10headeronly6detail27GenericPackedTensorAccessorINS7_14TensorAccessorINS3_8ArrayRefIlEEKT_Lm4ENS6_16DefaultPtrTraitsEiEENS_6detail16IndexBoundsCheckILm5EiEESD_Lm5ESE_iEENS8_INS9_ISB_SC_Lm4ESE_iEESI_SC_Lm5ESE_iEESJ_iiiiiiiii,@function
_ZN2at6native12_GLOBAL__N_143conv_depthwise3d_cuda_backward_input_kernelIN3c108BFloat16EfLi3ELi3ELi3ELin1ELin1ELin1ELi1ELi1ELi1EEEvN5torch10headeronly6detail27GenericPackedTensorAccessorINS7_14TensorAccessorINS3_8ArrayRefIlEEKT_Lm4ENS6_16DefaultPtrTraitsEiEENS_6detail16IndexBoundsCheckILm5EiEESD_Lm5ESE_iEENS8_INS9_ISB_SC_Lm4ESE_iEESI_SC_Lm5ESE_iEESJ_iiiiiiiii: ; @_ZN2at6native12_GLOBAL__N_143conv_depthwise3d_cuda_backward_input_kernelIN3c108BFloat16EfLi3ELi3ELi3ELin1ELin1ELin1ELi1ELi1ELi1EEEvN5torch10headeronly6detail27GenericPackedTensorAccessorINS7_14TensorAccessorINS3_8ArrayRefIlEEKT_Lm4ENS6_16DefaultPtrTraitsEiEENS_6detail16IndexBoundsCheckILm5EiEESD_Lm5ESE_iEENS8_INS9_ISB_SC_Lm4ESE_iEESI_SC_Lm5ESE_iEESJ_iiiiiiiii
; %bb.0:
	s_mov_b64 s[82:83], s[2:3]
	s_mov_b64 s[80:81], s[0:1]
	s_clause 0x2
	s_load_dwordx4 s[8:11], s[4:5], 0x38
	s_load_dword s2, s[4:5], 0xc4
	s_load_dwordx2 s[24:25], s[4:5], 0x48
	s_add_u32 s80, s80, s7
	s_addc_u32 s81, s81, 0
	s_waitcnt lgkmcnt(0)
	s_abs_i32 s33, s9
	s_add_u32 s0, s4, 0xb8
	v_cvt_f32_u32_e32 v1, s33
	s_addc_u32 s1, s5, 0
	s_and_b32 s2, s2, 0xffff
	v_rcp_iflag_f32_e32 v2, v1
	v_mov_b32_e32 v1, 0
	v_mad_u64_u32 v[0:1], null, s2, s6, v[0:1]
	s_mul_i32 s6, s25, s8
	s_mov_b32 s8, exec_lo
	v_mul_f32_e32 v2, 0x4f7ffffe, v2
	s_ashr_i32 s7, s6, 31
	v_cvt_u32_f32_e32 v2, v2
	v_readfirstlane_b32 s3, v2
	v_cmpx_gt_i64_e64 s[6:7], v[0:1]
	s_cbranch_execz .LBB29_62
; %bb.1:
	s_clause 0x1
	s_load_dwordx4 s[12:15], s[4:5], 0xc
	s_load_dwordx2 s[26:27], s[4:5], 0x0
	s_sub_i32 s16, 0, s33
	s_load_dwordx2 s[28:29], s[4:5], 0xac
	s_load_dword s0, s[0:1], 0x0
	s_mul_i32 s8, s16, s3
	v_mul_lo_u32 v6, s16, v2
	s_mul_hi_u32 s8, s3, s8
	s_add_i32 s3, s3, s8
	s_ashr_i32 s8, s9, 31
	v_mul_hi_u32 v6, v2, v6
	s_waitcnt lgkmcnt(0)
	s_abs_i32 s17, s12
	s_ashr_i32 s12, s12, 31
	s_mul_hi_u32 s3, s17, s3
	s_xor_b32 s12, s12, s8
	s_mul_i32 s18, s3, s33
	v_add_nc_u32_e32 v2, v2, v6
	s_sub_i32 s17, s17, s18
	s_add_i32 s18, s3, 1
	s_sub_i32 s19, s17, s33
	s_cmp_ge_u32 s17, s33
	s_mul_i32 s43, s0, s2
	s_cselect_b32 s3, s18, s3
	s_cselect_b32 s17, s19, s17
	s_add_i32 s18, s3, 1
	s_cmp_ge_u32 s17, s33
	s_cselect_b32 s3, s18, s3
	s_clause 0x3
	s_load_dwordx4 s[16:19], s[4:5], 0x9c
	s_load_dword s42, s[4:5], 0x7c
	s_load_dwordx2 s[30:31], s[4:5], 0x1c
	s_load_dwordx2 s[34:35], s[4:5], 0x30
	s_xor_b32 s3, s3, s12
	s_sub_i32 s12, s3, s12
	s_cmp_gt_i32 s12, 0
	s_cselect_b32 s38, -1, 0
	s_abs_i32 s39, s24
	s_abs_i32 s40, s11
	;; [unrolled: 1-line block ×3, first 2 shown]
	v_cvt_f32_u32_e32 v3, s39
	v_cvt_f32_u32_e32 v4, s40
	;; [unrolled: 1-line block ×3, first 2 shown]
	s_sub_i32 s1, 0, s39
	s_sub_i32 s3, 0, s40
	v_rcp_iflag_f32_e32 v3, v3
	v_rcp_iflag_f32_e32 v4, v4
	;; [unrolled: 1-line block ×3, first 2 shown]
	s_sub_i32 s20, 0, s41
	s_lshl_b32 s44, s29, 1
	s_lshl_b32 s45, s28, 1
	s_waitcnt lgkmcnt(0)
	s_lshl_b32 s46, s19, 1
	s_ashr_i32 s47, s24, 31
	s_ashr_i32 s48, s11, 31
	;; [unrolled: 1-line block ×3, first 2 shown]
	v_mul_f32_e32 v3, 0x4f7ffffe, v3
	v_mul_f32_e32 v4, 0x4f7ffffe, v4
	;; [unrolled: 1-line block ×3, first 2 shown]
	s_mul_i32 s50, s31, s12
	v_cvt_u32_f32_e32 v3, v3
	v_cvt_u32_f32_e32 v4, v4
	;; [unrolled: 1-line block ×3, first 2 shown]
	v_mul_lo_u32 v7, s1, v3
	v_mul_lo_u32 v8, s3, v4
	;; [unrolled: 1-line block ×3, first 2 shown]
	s_clause 0x1
	s_load_dwordx2 s[36:37], s[4:5], 0x60
	s_load_dwordx4 s[20:23], s[4:5], 0x50
	buffer_store_dword v2, off, s[80:83], 0 ; 4-byte Folded Spill
	s_mov_b32 s5, 0
	v_mul_hi_u32 v2, v3, v7
	v_mul_hi_u32 v6, v4, v8
	v_mul_hi_u32 v7, v5, v9
	v_add_nc_u32_e32 v2, v3, v2
	v_add_nc_u32_e32 v62, v4, v6
	;; [unrolled: 1-line block ×3, first 2 shown]
	buffer_store_dword v2, off, s[80:83], 0 offset:4 ; 4-byte Folded Spill
	s_branch .LBB29_4
.LBB29_2:                               ;   in Loop: Header=BB29_4 Depth=1
	s_or_b32 exec_lo, exec_lo, s0
.LBB29_3:                               ;   in Loop: Header=BB29_4 Depth=1
	v_mul_lo_u32 v2, v67, s25
	s_waitcnt lgkmcnt(0)
	v_mul_lo_u32 v4, s20, v68
	v_bfe_u32 v5, v72, 16, 1
	v_mul_lo_u32 v6, s21, v66
	v_mul_lo_u32 v8, s22, v65
	;; [unrolled: 1-line block ×3, first 2 shown]
	v_cmp_o_f32_e32 vcc_lo, v72, v72
	v_add3_u32 v13, v72, v5, 0x7fff
	v_ashrrev_i32_e32 v3, 31, v2
	v_ashrrev_i32_e32 v5, 31, v4
	v_mov_b32_e32 v12, 0x7fc0
	v_ashrrev_i32_e32 v7, 31, v6
	v_ashrrev_i32_e32 v9, 31, v8
	v_lshlrev_b64 v[2:3], 1, v[2:3]
	v_lshlrev_b64 v[4:5], 1, v[4:5]
	v_ashrrev_i32_e32 v11, 31, v10
	v_add_co_u32 v14, s0, s34, v2
	v_add_co_ci_u32_e64 v15, null, s35, v3, s0
	v_lshlrev_b64 v[2:3], 1, v[6:7]
	v_add_co_u32 v4, s0, v14, v4
	v_add_co_ci_u32_e64 v5, null, v15, v5, s0
	v_cndmask_b32_sdwa v6, v12, v13, vcc_lo dst_sel:DWORD dst_unused:UNUSED_PAD src0_sel:DWORD src1_sel:WORD_1
	v_add_co_u32 v7, vcc_lo, v4, v2
	v_add_co_ci_u32_e64 v12, null, v5, v3, vcc_lo
	v_lshlrev_b64 v[2:3], 1, v[8:9]
	v_add_co_u32 v0, vcc_lo, v0, s43
	v_lshlrev_b64 v[4:5], 1, v[10:11]
	v_add_co_ci_u32_e64 v1, null, 0, v1, vcc_lo
	v_add_co_u32 v2, vcc_lo, v7, v2
	v_add_co_ci_u32_e64 v3, null, v12, v3, vcc_lo
	v_cmp_le_i64_e32 vcc_lo, s[6:7], v[0:1]
	v_add_co_u32 v2, s0, v2, v4
	v_add_co_ci_u32_e64 v3, null, v3, v5, s0
	s_or_b32 s5, vcc_lo, s5
	global_store_short v[2:3], v6, off
	s_andn2_b32 exec_lo, exec_lo, s5
	s_cbranch_execz .LBB29_62
.LBB29_4:                               ; =>This Loop Header: Depth=1
                                        ;     Child Loop BB29_7 Depth 2
	buffer_load_dword v3, off, s[80:83], 0 offset:4 ; 4-byte Folded Reload
	v_sub_nc_u32_e32 v2, 0, v0
	v_max_i32_e32 v2, v0, v2
	s_waitcnt vmcnt(0)
	v_mul_hi_u32 v3, v2, v3
	v_mul_lo_u32 v4, v3, s39
	v_sub_nc_u32_e32 v2, v2, v4
	v_add_nc_u32_e32 v4, 1, v3
	v_subrev_nc_u32_e32 v5, s39, v2
	v_cmp_le_u32_e32 vcc_lo, s39, v2
	v_cndmask_b32_e32 v3, v3, v4, vcc_lo
	v_cndmask_b32_e32 v2, v2, v5, vcc_lo
	v_ashrrev_i32_e32 v4, 31, v0
	v_add_nc_u32_e32 v5, 1, v3
	v_cmp_le_u32_e32 vcc_lo, s39, v2
	v_xor_b32_e32 v4, s47, v4
	v_cndmask_b32_e32 v2, v3, v5, vcc_lo
	v_xor_b32_e32 v2, v2, v4
	v_sub_nc_u32_e32 v2, v2, v4
	v_sub_nc_u32_e32 v3, 0, v2
	v_max_i32_e32 v3, v2, v3
	v_mul_hi_u32 v4, v3, v62
	v_mul_lo_u32 v5, v4, s40
	v_sub_nc_u32_e32 v3, v3, v5
	v_add_nc_u32_e32 v5, 1, v4
	v_subrev_nc_u32_e32 v6, s40, v3
	v_cmp_le_u32_e32 vcc_lo, s40, v3
	v_cndmask_b32_e32 v4, v4, v5, vcc_lo
	v_cndmask_b32_e32 v3, v3, v6, vcc_lo
	v_ashrrev_i32_e32 v5, 31, v2
	v_add_nc_u32_e32 v6, 1, v4
	v_cmp_le_u32_e32 vcc_lo, s40, v3
	v_xor_b32_e32 v5, s48, v5
	v_cndmask_b32_e32 v3, v4, v6, vcc_lo
	v_xor_b32_e32 v3, v3, v5
	v_sub_nc_u32_e32 v3, v3, v5
	v_sub_nc_u32_e32 v4, 0, v3
	v_max_i32_e32 v4, v3, v4
	v_mul_hi_u32 v5, v4, v63
	v_mul_lo_u32 v6, v5, s41
	v_sub_nc_u32_e32 v4, v4, v6
	v_add_nc_u32_e32 v6, 1, v5
	v_subrev_nc_u32_e32 v7, s41, v4
	v_cmp_le_u32_e32 vcc_lo, s41, v4
	v_cndmask_b32_e32 v5, v5, v6, vcc_lo
	v_cndmask_b32_e32 v4, v4, v7, vcc_lo
	v_ashrrev_i32_e32 v6, 31, v3
	v_add_nc_u32_e32 v7, 1, v5
	v_cmp_le_u32_e32 vcc_lo, s41, v4
	v_xor_b32_e32 v6, s49, v6
	v_cndmask_b32_e32 v4, v5, v7, vcc_lo
	v_xor_b32_e32 v4, v4, v6
	v_sub_nc_u32_e32 v4, v4, v6
	buffer_load_dword v6, off, s[80:83], 0  ; 4-byte Folded Reload
	v_sub_nc_u32_e32 v5, 0, v4
	v_max_i32_e32 v5, v4, v5
	s_waitcnt vmcnt(0)
	v_mul_hi_u32 v6, v5, v6
	v_mul_lo_u32 v7, v6, s33
	v_sub_nc_u32_e32 v5, v5, v7
	v_add_nc_u32_e32 v7, 1, v6
	v_subrev_nc_u32_e32 v8, s33, v5
	v_cmp_le_u32_e32 vcc_lo, s33, v5
	v_cndmask_b32_e32 v6, v6, v7, vcc_lo
	v_cndmask_b32_e32 v5, v5, v8, vcc_lo
	v_ashrrev_i32_e32 v7, 31, v4
	v_add_nc_u32_e32 v8, 1, v6
	v_cmp_le_u32_e32 vcc_lo, s33, v5
	v_xor_b32_e32 v7, s8, v7
	v_cndmask_b32_e32 v5, v6, v8, vcc_lo
	v_mul_lo_u32 v6, v3, s11
	s_andn2_b32 vcc_lo, exec_lo, s38
	v_xor_b32_e32 v5, v5, v7
	v_sub_nc_u32_e32 v65, v2, v6
	v_sub_nc_u32_e32 v67, v5, v7
	v_mul_lo_u32 v5, v2, s24
	v_mul_lo_u32 v7, v4, s10
	;; [unrolled: 1-line block ×3, first 2 shown]
	v_sub_nc_u32_e32 v64, v0, v5
	v_sub_nc_u32_e32 v66, v3, v7
	;; [unrolled: 1-line block ×3, first 2 shown]
	s_cbranch_vccnz .LBB29_61
; %bb.5:                                ;   in Loop: Header=BB29_4 Depth=1
	v_mul_lo_u32 v69, v68, s12
	v_mul_lo_u32 v2, s30, v67
	v_add_nc_u32_e32 v27, s16, v66
	v_add_nc_u32_e32 v23, s17, v65
	;; [unrolled: 1-line block ×3, first 2 shown]
	v_mul_lo_u32 v14, v27, s14
	v_mul_lo_u32 v4, s42, v69
	v_ashrrev_i32_e32 v3, 31, v2
	v_or_b32_e32 v6, v18, v23
	v_subrev_nc_u32_e32 v19, s29, v18
	v_cmp_gt_i32_e64 s0, s14, v23
	v_subrev_nc_u32_e32 v24, s46, v27
	v_lshlrev_b64 v[2:3], 1, v[2:3]
	v_add_nc_u32_e32 v7, v23, v14
	v_ashrrev_i32_e32 v5, 31, v4
	v_subrev_nc_u32_e32 v30, s19, v27
	v_cmp_gt_i32_e32 vcc_lo, s13, v27
	v_subrev_nc_u32_e32 v21, s44, v18
	v_add_co_u32 v70, s1, s26, v2
	v_lshlrev_b64 v[4:5], 1, v[4:5]
	v_add_co_ci_u32_e64 v71, null, s27, v3, s1
	v_mul_lo_u32 v8, v7, s15
	v_or_b32_e32 v7, v19, v23
	v_or_b32_e32 v25, v6, v24
	s_waitcnt lgkmcnt(0)
	v_add_co_u32 v2, s1, s36, v4
	v_or_b32_e32 v4, v6, v27
	v_add_co_ci_u32_e64 v3, null, s37, v5, s1
	v_cmp_gt_i32_e64 s1, s15, v18
	v_or_b32_e32 v29, v6, v30
	v_cmp_lt_i32_e64 s2, -1, v4
	v_or_b32_e32 v6, v7, v27
	v_or_b32_e32 v9, v21, v23
	s_and_b32 s69, s1, s0
	v_subrev_nc_u32_e32 v22, s28, v23
	s_and_b32 s2, s69, s2
	v_cmp_lt_i32_e64 s3, -1, v6
	s_and_b32 s51, s2, vcc_lo
	v_cmp_gt_i32_e64 s2, s15, v19
	v_or_b32_e32 v10, v9, v27
	v_or_b32_e32 v11, v18, v22
	;; [unrolled: 1-line block ×3, first 2 shown]
	v_add_nc_u32_e32 v12, v22, v14
	s_and_b32 s70, s2, s0
	v_cmp_lt_i32_e64 s4, -1, v10
	s_and_b32 s3, s70, s3
	v_or_b32_e32 v10, v11, v27
	s_and_b32 s52, s3, vcc_lo
	v_cmp_gt_i32_e64 s3, s15, v21
	v_mul_lo_u32 v16, v12, s15
	v_or_b32_e32 v12, v13, v27
	v_or_b32_e32 v15, v21, v22
	v_subrev_nc_u32_e32 v20, s45, v23
	s_and_b32 s71, s3, s0
	v_cmp_gt_i32_e64 s0, s14, v22
	s_and_b32 s4, s71, s4
	v_or_b32_e32 v35, v15, v27
	s_and_b32 s53, s4, vcc_lo
	v_cmp_lt_i32_e64 s4, -1, v10
	s_and_b32 s72, s1, s0
	s_and_b32 s73, s2, s0
	v_or_b32_e32 v17, v18, v20
	v_add_nc_u32_e32 v10, v18, v16
	s_and_b32 s4, s72, s4
	s_and_b32 s74, s3, s0
	s_and_b32 s54, s4, vcc_lo
	v_cmp_lt_i32_e64 s4, -1, v12
	v_add_nc_u32_e32 v12, v19, v16
	v_or_b32_e32 v28, v19, v20
	v_cmp_gt_i32_e64 s0, s14, v20
	v_or_b32_e32 v31, v21, v20
	s_and_b32 s4, s73, s4
	v_or_b32_e32 v32, v7, v30
	s_and_b32 s55, s4, vcc_lo
	v_cmp_lt_i32_e64 s4, -1, v35
	v_add_nc_u32_e32 v35, v20, v14
	v_add_nc_u32_e32 v14, v21, v16
	v_or_b32_e32 v16, v17, v27
	v_or_b32_e32 v36, v28, v27
	s_and_b32 s4, s74, s4
	s_and_b32 s75, s1, s0
	s_and_b32 s56, s4, vcc_lo
	v_cmp_lt_i32_e64 s4, -1, v16
	s_and_b32 s76, s2, s0
	s_and_b32 s77, s3, s0
	v_cmp_lt_i32_e64 s0, -1, v29
	v_or_b32_e32 v33, v9, v30
	s_and_b32 s1, s75, s4
	v_or_b32_e32 v34, v11, v30
	s_and_b32 s57, s1, vcc_lo
	v_cmp_lt_i32_e64 s1, -1, v36
	v_or_b32_e32 v36, v31, v27
	v_or_b32_e32 v38, v13, v30
	;; [unrolled: 1-line block ×4, first 2 shown]
	s_and_b32 s1, s76, s1
	v_or_b32_e32 v43, v28, v30
	s_and_b32 s58, s1, vcc_lo
	v_cmp_lt_i32_e64 s1, -1, v36
	v_or_b32_e32 v44, v31, v30
	v_mul_lo_u32 v35, v35, s15
	v_mul_lo_u32 v40, v30, s14
	;; [unrolled: 1-line block ×3, first 2 shown]
	s_and_b32 s1, s77, s1
	v_or_b32_e32 v26, v7, v24
	s_and_b32 s59, s1, vcc_lo
	v_cmp_gt_i32_e32 vcc_lo, s13, v30
	s_and_b32 s1, s69, s0
	v_cmp_lt_i32_e64 s0, -1, v32
	v_cmp_lt_i32_e64 s2, -1, v44
	v_or_b32_e32 v50, v11, v24
	s_and_b32 s60, s1, vcc_lo
	v_add_nc_u32_e32 v16, v18, v35
	s_and_b32 s1, s70, s0
	v_cmp_lt_i32_e64 s0, -1, v33
	s_and_b32 s61, s1, vcc_lo
	v_cmp_lt_i32_e64 s1, -1, v34
	v_add_nc_u32_e32 v27, v19, v35
	v_add_nc_u32_e32 v37, v23, v40
	s_and_b32 s0, s71, s0
	v_add_nc_u32_e32 v29, v21, v35
	s_and_b32 s62, s0, vcc_lo
	s_and_b32 s0, s72, s1
	v_cmp_lt_i32_e64 s1, -1, v39
	s_and_b32 s63, s0, vcc_lo
	v_cmp_lt_i32_e64 s0, -1, v38
	v_add_nc_u32_e32 v35, v22, v40
	v_add_nc_u32_e32 v40, v20, v40
	;; [unrolled: 1-line block ×4, first 2 shown]
	s_and_b32 s0, s73, s0
	v_or_b32_e32 v51, v13, v24
	s_and_b32 s64, s0, vcc_lo
	s_and_b32 s0, s74, s1
	v_cmp_lt_i32_e64 s1, -1, v43
	s_and_b32 s65, s0, vcc_lo
	v_cmp_lt_i32_e64 s0, -1, v42
	s_and_b32 s3, s77, s2
	v_cmp_lt_i32_e64 s2, -1, v26
	v_add_nc_u32_e32 v20, v20, v53
	v_or_b32_e32 v49, v9, v24
	s_and_b32 s0, s75, s0
	v_mul_lo_u32 v36, v37, s15
	s_and_b32 s66, s0, vcc_lo
	s_and_b32 s0, s76, s1
	v_cmp_lt_i32_e64 s1, -1, v25
	s_and_b32 s67, s0, vcc_lo
	v_cmp_gt_i32_e64 s0, s13, v24
	v_mul_lo_u32 v41, v35, s15
	v_mul_lo_u32 v46, v40, s15
	s_and_b32 s1, s69, s1
	v_mul_lo_u32 v23, v23, s15
	s_and_b32 s69, s1, s0
	v_cmp_lt_i32_e64 s1, -1, v50
	v_mul_lo_u32 v22, v22, s15
	s_and_b32 s4, s70, s2
	v_cmp_lt_i32_e64 s2, -1, v51
	v_mul_lo_u32 v20, v20, s15
	v_or_b32_e32 v57, v31, v24
	s_and_b32 s68, s3, vcc_lo
	v_cmp_lt_i32_e32 vcc_lo, -1, v49
	s_and_b32 s1, s72, s1
	v_or_b32_e32 v55, v28, v24
	s_and_b32 s72, s1, s0
	s_and_b32 s1, s73, s2
	v_add_nc_u32_e32 v31, v18, v36
	v_add_nc_u32_e32 v33, v19, v36
	v_add_nc_u32_e32 v37, v18, v41
	v_add_nc_u32_e32 v39, v19, v41
	v_add_nc_u32_e32 v41, v21, v41
	v_add_nc_u32_e32 v47, v21, v46
	v_add_nc_u32_e32 v49, v18, v23
	s_and_b32 s70, s4, s0
	s_and_b32 s4, s71, vcc_lo
	s_and_b32 s2, s1, s0
	v_cmp_lt_i32_e64 s1, -1, v57
	v_add_nc_u32_e32 v57, v19, v22
	v_add_nc_u32_e32 v4, v18, v8
	v_add_nc_u32_e32 v6, v19, v8
	v_add_nc_u32_e32 v8, v21, v8
	v_or_b32_e32 v52, v15, v24
	v_or_b32_e32 v54, v17, v24
	v_add_nc_u32_e32 v35, v21, v36
	v_add_nc_u32_e32 v43, v18, v46
	;; [unrolled: 1-line block ×4, first 2 shown]
	s_and_b32 s71, s4, s0
	v_add_nc_u32_e32 v53, v21, v23
	v_cmp_lt_i32_e64 s4, -1, v55
	v_add_nc_u32_e32 v55, v18, v22
	v_add_nc_u32_e32 v59, v21, v22
	v_add_nc_u32_e32 v72, v18, v20
	v_add_nc_u32_e32 v74, v19, v20
	v_add_nc_u32_e32 v76, v21, v20
	v_ashrrev_i32_e32 v28, 31, v27
	v_ashrrev_i32_e32 v30, 31, v29
	v_ashrrev_i32_e32 v32, 31, v31
	v_ashrrev_i32_e32 v34, 31, v33
	v_ashrrev_i32_e32 v38, 31, v37
	v_ashrrev_i32_e32 v40, 31, v39
	v_ashrrev_i32_e32 v42, 31, v41
	v_ashrrev_i32_e32 v48, 31, v47
	v_ashrrev_i32_e32 v50, 31, v49
	v_ashrrev_i32_e32 v58, 31, v57
	v_ashrrev_i32_e32 v5, 31, v4
	v_ashrrev_i32_e32 v7, 31, v6
	v_ashrrev_i32_e32 v9, 31, v8
	v_ashrrev_i32_e32 v11, 31, v10
	v_ashrrev_i32_e32 v13, 31, v12
	v_ashrrev_i32_e32 v15, 31, v14
	v_ashrrev_i32_e32 v17, 31, v16
	v_ashrrev_i32_e32 v36, 31, v35
	v_ashrrev_i32_e32 v44, 31, v43
	v_ashrrev_i32_e32 v46, 31, v45
	v_cmp_lt_i32_e64 s3, -1, v52
	v_ashrrev_i32_e32 v52, 31, v51
	v_cmp_lt_i32_e32 vcc_lo, -1, v54
	v_ashrrev_i32_e32 v54, 31, v53
	v_ashrrev_i32_e32 v56, 31, v55
	;; [unrolled: 1-line block ×6, first 2 shown]
	v_lshlrev_b64 v[18:19], 1, v[27:28]
	v_lshlrev_b64 v[20:21], 1, v[29:30]
	;; [unrolled: 1-line block ×10, first 2 shown]
	v_mul_lo_u32 v58, s50, v68
	v_lshlrev_b64 v[4:5], 1, v[4:5]
	v_lshlrev_b64 v[6:7], 1, v[6:7]
	v_lshlrev_b64 v[8:9], 1, v[8:9]
	v_lshlrev_b64 v[10:11], 1, v[10:11]
	v_lshlrev_b64 v[12:13], 1, v[12:13]
	v_lshlrev_b64 v[14:15], 1, v[14:15]
	v_lshlrev_b64 v[16:17], 1, v[16:17]
	v_lshlrev_b64 v[26:27], 1, v[35:36]
	v_lshlrev_b64 v[34:35], 1, v[43:44]
	v_lshlrev_b64 v[36:37], 1, v[45:46]
	v_lshlrev_b64 v[42:43], 1, v[51:52]
	v_lshlrev_b64 v[44:45], 1, v[53:54]
	v_lshlrev_b64 v[46:47], 1, v[55:56]
	v_lshlrev_b64 v[50:51], 1, v[59:60]
	v_lshlrev_b64 v[52:53], 1, v[72:73]
	v_lshlrev_b64 v[54:55], 1, v[74:75]
	v_lshlrev_b64 v[56:57], 1, v[76:77]
	v_add_nc_u32_e32 v73, s12, v69
	v_mov_b32_e32 v72, 0
	s_and_b32 s3, s74, s3
	s_and_b32 s73, s75, vcc_lo
	s_and_b32 s4, s76, s4
	s_and_b32 s74, s77, s1
	;; [unrolled: 1-line block ×6, first 2 shown]
	s_mov_b32 s0, 0
	s_branch .LBB29_7
.LBB29_6:                               ;   in Loop: Header=BB29_7 Depth=2
	s_or_b32 exec_lo, exec_lo, s74
	s_waitcnt vmcnt(26)
	v_lshlrev_b32_e32 v61, 16, v74
	v_add_nc_u32_e32 v69, 1, v69
	v_add_co_u32 v2, vcc_lo, v2, 54
	v_add_co_ci_u32_e64 v3, null, 0, v3, vcc_lo
	v_fmac_f32_e32 v72, v59, v61
	s_waitcnt vmcnt(25)
	v_lshlrev_b32_e32 v59, 16, v77
	v_cmp_ge_i32_e32 vcc_lo, v69, v73
	v_add_nc_u32_e32 v58, s31, v58
	v_fmac_f32_e32 v72, v79, v59
	s_waitcnt vmcnt(24)
	v_lshlrev_b32_e32 v59, 16, v80
	s_or_b32 s0, vcc_lo, s0
	v_fmac_f32_e32 v72, v78, v59
	s_waitcnt vmcnt(23)
	v_lshlrev_b32_e32 v59, 16, v81
	v_fmac_f32_e32 v72, v83, v59
	s_waitcnt vmcnt(22)
	v_lshlrev_b32_e32 v59, 16, v84
	;; [unrolled: 3-line block ×24, first 2 shown]
	v_fmac_f32_e32 v72, v126, v59
	s_andn2_b32 exec_lo, exec_lo, s0
	s_cbranch_execz .LBB29_2
.LBB29_7:                               ;   Parent Loop BB29_4 Depth=1
                                        ; =>  This Inner Loop Header: Depth=2
	global_load_ushort v74, v[2:3], off
	v_ashrrev_i32_e32 v59, 31, v58
	v_lshlrev_b64 v[59:60], 1, v[58:59]
	v_add_co_u32 v75, vcc_lo, v70, v59
	v_add_co_ci_u32_e64 v76, null, v71, v60, vcc_lo
	v_mov_b32_e32 v59, 0
	s_and_saveexec_b32 s74, s51
	s_cbranch_execz .LBB29_9
; %bb.8:                                ;   in Loop: Header=BB29_7 Depth=2
	v_add_co_u32 v59, vcc_lo, v75, v4
	v_add_co_ci_u32_e64 v60, null, v76, v5, vcc_lo
	global_load_ushort v59, v[59:60], off
	s_waitcnt vmcnt(0)
	v_lshlrev_b32_e32 v59, 16, v59
.LBB29_9:                               ;   in Loop: Header=BB29_7 Depth=2
	s_or_b32 exec_lo, exec_lo, s74
	global_load_ushort v77, v[2:3], off offset:2
	v_mov_b32_e32 v78, 0
	v_mov_b32_e32 v79, 0
	s_and_saveexec_b32 s74, s52
	s_cbranch_execz .LBB29_11
; %bb.10:                               ;   in Loop: Header=BB29_7 Depth=2
	v_add_co_u32 v79, vcc_lo, v75, v6
	v_add_co_ci_u32_e64 v80, null, v76, v7, vcc_lo
	global_load_ushort v60, v[79:80], off
	s_waitcnt vmcnt(0)
	v_lshlrev_b32_e32 v79, 16, v60
.LBB29_11:                              ;   in Loop: Header=BB29_7 Depth=2
	s_or_b32 exec_lo, exec_lo, s74
	global_load_ushort v80, v[2:3], off offset:4
	s_and_saveexec_b32 s74, s53
	s_cbranch_execz .LBB29_13
; %bb.12:                               ;   in Loop: Header=BB29_7 Depth=2
	v_add_co_u32 v81, vcc_lo, v75, v8
	v_add_co_ci_u32_e64 v82, null, v76, v9, vcc_lo
	global_load_ushort v60, v[81:82], off
	s_waitcnt vmcnt(0)
	v_lshlrev_b32_e32 v78, 16, v60
.LBB29_13:                              ;   in Loop: Header=BB29_7 Depth=2
	s_or_b32 exec_lo, exec_lo, s74
	global_load_ushort v81, v[2:3], off offset:6
	v_mov_b32_e32 v82, 0
	v_mov_b32_e32 v83, 0
	s_and_saveexec_b32 s74, s54
	s_cbranch_execz .LBB29_15
; %bb.14:                               ;   in Loop: Header=BB29_7 Depth=2
	v_add_co_u32 v83, vcc_lo, v75, v10
	v_add_co_ci_u32_e64 v84, null, v76, v11, vcc_lo
	global_load_ushort v60, v[83:84], off
	s_waitcnt vmcnt(0)
	v_lshlrev_b32_e32 v83, 16, v60
.LBB29_15:                              ;   in Loop: Header=BB29_7 Depth=2
	s_or_b32 exec_lo, exec_lo, s74
	global_load_ushort v84, v[2:3], off offset:8
	s_and_saveexec_b32 s74, s55
	s_cbranch_execz .LBB29_17
; %bb.16:                               ;   in Loop: Header=BB29_7 Depth=2
	v_add_co_u32 v85, vcc_lo, v75, v12
	v_add_co_ci_u32_e64 v86, null, v76, v13, vcc_lo
	global_load_ushort v60, v[85:86], off
	s_waitcnt vmcnt(0)
	v_lshlrev_b32_e32 v82, 16, v60
.LBB29_17:                              ;   in Loop: Header=BB29_7 Depth=2
	;; [unrolled: 24-line block ×12, first 2 shown]
	s_or_b32 exec_lo, exec_lo, s74
	global_load_ushort v125, v[2:3], off offset:50
	v_mov_b32_e32 v126, 0
	v_mov_b32_e32 v127, 0
	s_and_saveexec_b32 s74, s1
	s_cbranch_execz .LBB29_59
; %bb.58:                               ;   in Loop: Header=BB29_7 Depth=2
	v_add_co_u32 v60, vcc_lo, v75, v54
	v_add_co_ci_u32_e64 v61, null, v76, v55, vcc_lo
	global_load_ushort v60, v[60:61], off
	s_waitcnt vmcnt(0)
	v_lshlrev_b32_e32 v127, 16, v60
.LBB29_59:                              ;   in Loop: Header=BB29_7 Depth=2
	s_or_b32 exec_lo, exec_lo, s74
	global_load_ushort v60, v[2:3], off offset:52
	s_and_saveexec_b32 s74, s4
	s_cbranch_execz .LBB29_6
; %bb.60:                               ;   in Loop: Header=BB29_7 Depth=2
	v_add_co_u32 v75, vcc_lo, v75, v56
	v_add_co_ci_u32_e64 v76, null, v76, v57, vcc_lo
	global_load_ushort v61, v[75:76], off
	s_waitcnt vmcnt(0)
	v_lshlrev_b32_e32 v126, 16, v61
	s_branch .LBB29_6
.LBB29_61:                              ;   in Loop: Header=BB29_4 Depth=1
	v_mov_b32_e32 v72, 0
	s_branch .LBB29_3
.LBB29_62:
	s_endpgm
	.section	.rodata,"a",@progbits
	.p2align	6, 0x0
	.amdhsa_kernel _ZN2at6native12_GLOBAL__N_143conv_depthwise3d_cuda_backward_input_kernelIN3c108BFloat16EfLi3ELi3ELi3ELin1ELin1ELin1ELi1ELi1ELi1EEEvN5torch10headeronly6detail27GenericPackedTensorAccessorINS7_14TensorAccessorINS3_8ArrayRefIlEEKT_Lm4ENS6_16DefaultPtrTraitsEiEENS_6detail16IndexBoundsCheckILm5EiEESD_Lm5ESE_iEENS8_INS9_ISB_SC_Lm4ESE_iEESI_SC_Lm5ESE_iEESJ_iiiiiiiii
		.amdhsa_group_segment_fixed_size 0
		.amdhsa_private_segment_fixed_size 12
		.amdhsa_kernarg_size 440
		.amdhsa_user_sgpr_count 6
		.amdhsa_user_sgpr_private_segment_buffer 1
		.amdhsa_user_sgpr_dispatch_ptr 0
		.amdhsa_user_sgpr_queue_ptr 0
		.amdhsa_user_sgpr_kernarg_segment_ptr 1
		.amdhsa_user_sgpr_dispatch_id 0
		.amdhsa_user_sgpr_flat_scratch_init 0
		.amdhsa_user_sgpr_private_segment_size 0
		.amdhsa_wavefront_size32 1
		.amdhsa_uses_dynamic_stack 0
		.amdhsa_system_sgpr_private_segment_wavefront_offset 1
		.amdhsa_system_sgpr_workgroup_id_x 1
		.amdhsa_system_sgpr_workgroup_id_y 0
		.amdhsa_system_sgpr_workgroup_id_z 0
		.amdhsa_system_sgpr_workgroup_info 0
		.amdhsa_system_vgpr_workitem_id 0
		.amdhsa_next_free_vgpr 128
		.amdhsa_next_free_sgpr 84
		.amdhsa_reserve_vcc 1
		.amdhsa_reserve_flat_scratch 0
		.amdhsa_float_round_mode_32 0
		.amdhsa_float_round_mode_16_64 0
		.amdhsa_float_denorm_mode_32 3
		.amdhsa_float_denorm_mode_16_64 3
		.amdhsa_dx10_clamp 1
		.amdhsa_ieee_mode 1
		.amdhsa_fp16_overflow 0
		.amdhsa_workgroup_processor_mode 1
		.amdhsa_memory_ordered 1
		.amdhsa_forward_progress 1
		.amdhsa_shared_vgpr_count 0
		.amdhsa_exception_fp_ieee_invalid_op 0
		.amdhsa_exception_fp_denorm_src 0
		.amdhsa_exception_fp_ieee_div_zero 0
		.amdhsa_exception_fp_ieee_overflow 0
		.amdhsa_exception_fp_ieee_underflow 0
		.amdhsa_exception_fp_ieee_inexact 0
		.amdhsa_exception_int_div_zero 0
	.end_amdhsa_kernel
	.section	.text._ZN2at6native12_GLOBAL__N_143conv_depthwise3d_cuda_backward_input_kernelIN3c108BFloat16EfLi3ELi3ELi3ELin1ELin1ELin1ELi1ELi1ELi1EEEvN5torch10headeronly6detail27GenericPackedTensorAccessorINS7_14TensorAccessorINS3_8ArrayRefIlEEKT_Lm4ENS6_16DefaultPtrTraitsEiEENS_6detail16IndexBoundsCheckILm5EiEESD_Lm5ESE_iEENS8_INS9_ISB_SC_Lm4ESE_iEESI_SC_Lm5ESE_iEESJ_iiiiiiiii,"axG",@progbits,_ZN2at6native12_GLOBAL__N_143conv_depthwise3d_cuda_backward_input_kernelIN3c108BFloat16EfLi3ELi3ELi3ELin1ELin1ELin1ELi1ELi1ELi1EEEvN5torch10headeronly6detail27GenericPackedTensorAccessorINS7_14TensorAccessorINS3_8ArrayRefIlEEKT_Lm4ENS6_16DefaultPtrTraitsEiEENS_6detail16IndexBoundsCheckILm5EiEESD_Lm5ESE_iEENS8_INS9_ISB_SC_Lm4ESE_iEESI_SC_Lm5ESE_iEESJ_iiiiiiiii,comdat
.Lfunc_end29:
	.size	_ZN2at6native12_GLOBAL__N_143conv_depthwise3d_cuda_backward_input_kernelIN3c108BFloat16EfLi3ELi3ELi3ELin1ELin1ELin1ELi1ELi1ELi1EEEvN5torch10headeronly6detail27GenericPackedTensorAccessorINS7_14TensorAccessorINS3_8ArrayRefIlEEKT_Lm4ENS6_16DefaultPtrTraitsEiEENS_6detail16IndexBoundsCheckILm5EiEESD_Lm5ESE_iEENS8_INS9_ISB_SC_Lm4ESE_iEESI_SC_Lm5ESE_iEESJ_iiiiiiiii, .Lfunc_end29-_ZN2at6native12_GLOBAL__N_143conv_depthwise3d_cuda_backward_input_kernelIN3c108BFloat16EfLi3ELi3ELi3ELin1ELin1ELin1ELi1ELi1ELi1EEEvN5torch10headeronly6detail27GenericPackedTensorAccessorINS7_14TensorAccessorINS3_8ArrayRefIlEEKT_Lm4ENS6_16DefaultPtrTraitsEiEENS_6detail16IndexBoundsCheckILm5EiEESD_Lm5ESE_iEENS8_INS9_ISB_SC_Lm4ESE_iEESI_SC_Lm5ESE_iEESJ_iiiiiiiii
                                        ; -- End function
	.set _ZN2at6native12_GLOBAL__N_143conv_depthwise3d_cuda_backward_input_kernelIN3c108BFloat16EfLi3ELi3ELi3ELin1ELin1ELin1ELi1ELi1ELi1EEEvN5torch10headeronly6detail27GenericPackedTensorAccessorINS7_14TensorAccessorINS3_8ArrayRefIlEEKT_Lm4ENS6_16DefaultPtrTraitsEiEENS_6detail16IndexBoundsCheckILm5EiEESD_Lm5ESE_iEENS8_INS9_ISB_SC_Lm4ESE_iEESI_SC_Lm5ESE_iEESJ_iiiiiiiii.num_vgpr, 128
	.set _ZN2at6native12_GLOBAL__N_143conv_depthwise3d_cuda_backward_input_kernelIN3c108BFloat16EfLi3ELi3ELi3ELin1ELin1ELin1ELi1ELi1ELi1EEEvN5torch10headeronly6detail27GenericPackedTensorAccessorINS7_14TensorAccessorINS3_8ArrayRefIlEEKT_Lm4ENS6_16DefaultPtrTraitsEiEENS_6detail16IndexBoundsCheckILm5EiEESD_Lm5ESE_iEENS8_INS9_ISB_SC_Lm4ESE_iEESI_SC_Lm5ESE_iEESJ_iiiiiiiii.num_agpr, 0
	.set _ZN2at6native12_GLOBAL__N_143conv_depthwise3d_cuda_backward_input_kernelIN3c108BFloat16EfLi3ELi3ELi3ELin1ELin1ELin1ELi1ELi1ELi1EEEvN5torch10headeronly6detail27GenericPackedTensorAccessorINS7_14TensorAccessorINS3_8ArrayRefIlEEKT_Lm4ENS6_16DefaultPtrTraitsEiEENS_6detail16IndexBoundsCheckILm5EiEESD_Lm5ESE_iEENS8_INS9_ISB_SC_Lm4ESE_iEESI_SC_Lm5ESE_iEESJ_iiiiiiiii.numbered_sgpr, 84
	.set _ZN2at6native12_GLOBAL__N_143conv_depthwise3d_cuda_backward_input_kernelIN3c108BFloat16EfLi3ELi3ELi3ELin1ELin1ELin1ELi1ELi1ELi1EEEvN5torch10headeronly6detail27GenericPackedTensorAccessorINS7_14TensorAccessorINS3_8ArrayRefIlEEKT_Lm4ENS6_16DefaultPtrTraitsEiEENS_6detail16IndexBoundsCheckILm5EiEESD_Lm5ESE_iEENS8_INS9_ISB_SC_Lm4ESE_iEESI_SC_Lm5ESE_iEESJ_iiiiiiiii.num_named_barrier, 0
	.set _ZN2at6native12_GLOBAL__N_143conv_depthwise3d_cuda_backward_input_kernelIN3c108BFloat16EfLi3ELi3ELi3ELin1ELin1ELin1ELi1ELi1ELi1EEEvN5torch10headeronly6detail27GenericPackedTensorAccessorINS7_14TensorAccessorINS3_8ArrayRefIlEEKT_Lm4ENS6_16DefaultPtrTraitsEiEENS_6detail16IndexBoundsCheckILm5EiEESD_Lm5ESE_iEENS8_INS9_ISB_SC_Lm4ESE_iEESI_SC_Lm5ESE_iEESJ_iiiiiiiii.private_seg_size, 12
	.set _ZN2at6native12_GLOBAL__N_143conv_depthwise3d_cuda_backward_input_kernelIN3c108BFloat16EfLi3ELi3ELi3ELin1ELin1ELin1ELi1ELi1ELi1EEEvN5torch10headeronly6detail27GenericPackedTensorAccessorINS7_14TensorAccessorINS3_8ArrayRefIlEEKT_Lm4ENS6_16DefaultPtrTraitsEiEENS_6detail16IndexBoundsCheckILm5EiEESD_Lm5ESE_iEENS8_INS9_ISB_SC_Lm4ESE_iEESI_SC_Lm5ESE_iEESJ_iiiiiiiii.uses_vcc, 1
	.set _ZN2at6native12_GLOBAL__N_143conv_depthwise3d_cuda_backward_input_kernelIN3c108BFloat16EfLi3ELi3ELi3ELin1ELin1ELin1ELi1ELi1ELi1EEEvN5torch10headeronly6detail27GenericPackedTensorAccessorINS7_14TensorAccessorINS3_8ArrayRefIlEEKT_Lm4ENS6_16DefaultPtrTraitsEiEENS_6detail16IndexBoundsCheckILm5EiEESD_Lm5ESE_iEENS8_INS9_ISB_SC_Lm4ESE_iEESI_SC_Lm5ESE_iEESJ_iiiiiiiii.uses_flat_scratch, 0
	.set _ZN2at6native12_GLOBAL__N_143conv_depthwise3d_cuda_backward_input_kernelIN3c108BFloat16EfLi3ELi3ELi3ELin1ELin1ELin1ELi1ELi1ELi1EEEvN5torch10headeronly6detail27GenericPackedTensorAccessorINS7_14TensorAccessorINS3_8ArrayRefIlEEKT_Lm4ENS6_16DefaultPtrTraitsEiEENS_6detail16IndexBoundsCheckILm5EiEESD_Lm5ESE_iEENS8_INS9_ISB_SC_Lm4ESE_iEESI_SC_Lm5ESE_iEESJ_iiiiiiiii.has_dyn_sized_stack, 0
	.set _ZN2at6native12_GLOBAL__N_143conv_depthwise3d_cuda_backward_input_kernelIN3c108BFloat16EfLi3ELi3ELi3ELin1ELin1ELin1ELi1ELi1ELi1EEEvN5torch10headeronly6detail27GenericPackedTensorAccessorINS7_14TensorAccessorINS3_8ArrayRefIlEEKT_Lm4ENS6_16DefaultPtrTraitsEiEENS_6detail16IndexBoundsCheckILm5EiEESD_Lm5ESE_iEENS8_INS9_ISB_SC_Lm4ESE_iEESI_SC_Lm5ESE_iEESJ_iiiiiiiii.has_recursion, 0
	.set _ZN2at6native12_GLOBAL__N_143conv_depthwise3d_cuda_backward_input_kernelIN3c108BFloat16EfLi3ELi3ELi3ELin1ELin1ELin1ELi1ELi1ELi1EEEvN5torch10headeronly6detail27GenericPackedTensorAccessorINS7_14TensorAccessorINS3_8ArrayRefIlEEKT_Lm4ENS6_16DefaultPtrTraitsEiEENS_6detail16IndexBoundsCheckILm5EiEESD_Lm5ESE_iEENS8_INS9_ISB_SC_Lm4ESE_iEESI_SC_Lm5ESE_iEESJ_iiiiiiiii.has_indirect_call, 0
	.section	.AMDGPU.csdata,"",@progbits
; Kernel info:
; codeLenInByte = 4492
; TotalNumSgprs: 86
; NumVgprs: 128
; ScratchSize: 12
; MemoryBound: 0
; FloatMode: 240
; IeeeMode: 1
; LDSByteSize: 0 bytes/workgroup (compile time only)
; SGPRBlocks: 0
; VGPRBlocks: 15
; NumSGPRsForWavesPerEU: 86
; NumVGPRsForWavesPerEU: 128
; Occupancy: 8
; WaveLimiterHint : 0
; COMPUTE_PGM_RSRC2:SCRATCH_EN: 1
; COMPUTE_PGM_RSRC2:USER_SGPR: 6
; COMPUTE_PGM_RSRC2:TRAP_HANDLER: 0
; COMPUTE_PGM_RSRC2:TGID_X_EN: 1
; COMPUTE_PGM_RSRC2:TGID_Y_EN: 0
; COMPUTE_PGM_RSRC2:TGID_Z_EN: 0
; COMPUTE_PGM_RSRC2:TIDIG_COMP_CNT: 0
	.section	.text._ZN2at6native12_GLOBAL__N_143conv_depthwise3d_cuda_backward_input_kernelIN3c108BFloat16EfLi3ELi3ELi3ELin1ELin1ELin1ELin1ELin1ELin1EEEvN5torch10headeronly6detail27GenericPackedTensorAccessorINS7_14TensorAccessorINS3_8ArrayRefIlEEKT_Lm4ENS6_16DefaultPtrTraitsEiEENS_6detail16IndexBoundsCheckILm5EiEESD_Lm5ESE_iEENS8_INS9_ISB_SC_Lm4ESE_iEESI_SC_Lm5ESE_iEESJ_iiiiiiiii,"axG",@progbits,_ZN2at6native12_GLOBAL__N_143conv_depthwise3d_cuda_backward_input_kernelIN3c108BFloat16EfLi3ELi3ELi3ELin1ELin1ELin1ELin1ELin1ELin1EEEvN5torch10headeronly6detail27GenericPackedTensorAccessorINS7_14TensorAccessorINS3_8ArrayRefIlEEKT_Lm4ENS6_16DefaultPtrTraitsEiEENS_6detail16IndexBoundsCheckILm5EiEESD_Lm5ESE_iEENS8_INS9_ISB_SC_Lm4ESE_iEESI_SC_Lm5ESE_iEESJ_iiiiiiiii,comdat
	.globl	_ZN2at6native12_GLOBAL__N_143conv_depthwise3d_cuda_backward_input_kernelIN3c108BFloat16EfLi3ELi3ELi3ELin1ELin1ELin1ELin1ELin1ELin1EEEvN5torch10headeronly6detail27GenericPackedTensorAccessorINS7_14TensorAccessorINS3_8ArrayRefIlEEKT_Lm4ENS6_16DefaultPtrTraitsEiEENS_6detail16IndexBoundsCheckILm5EiEESD_Lm5ESE_iEENS8_INS9_ISB_SC_Lm4ESE_iEESI_SC_Lm5ESE_iEESJ_iiiiiiiii ; -- Begin function _ZN2at6native12_GLOBAL__N_143conv_depthwise3d_cuda_backward_input_kernelIN3c108BFloat16EfLi3ELi3ELi3ELin1ELin1ELin1ELin1ELin1ELin1EEEvN5torch10headeronly6detail27GenericPackedTensorAccessorINS7_14TensorAccessorINS3_8ArrayRefIlEEKT_Lm4ENS6_16DefaultPtrTraitsEiEENS_6detail16IndexBoundsCheckILm5EiEESD_Lm5ESE_iEENS8_INS9_ISB_SC_Lm4ESE_iEESI_SC_Lm5ESE_iEESJ_iiiiiiiii
	.p2align	8
	.type	_ZN2at6native12_GLOBAL__N_143conv_depthwise3d_cuda_backward_input_kernelIN3c108BFloat16EfLi3ELi3ELi3ELin1ELin1ELin1ELin1ELin1ELin1EEEvN5torch10headeronly6detail27GenericPackedTensorAccessorINS7_14TensorAccessorINS3_8ArrayRefIlEEKT_Lm4ENS6_16DefaultPtrTraitsEiEENS_6detail16IndexBoundsCheckILm5EiEESD_Lm5ESE_iEENS8_INS9_ISB_SC_Lm4ESE_iEESI_SC_Lm5ESE_iEESJ_iiiiiiiii,@function
_ZN2at6native12_GLOBAL__N_143conv_depthwise3d_cuda_backward_input_kernelIN3c108BFloat16EfLi3ELi3ELi3ELin1ELin1ELin1ELin1ELin1ELin1EEEvN5torch10headeronly6detail27GenericPackedTensorAccessorINS7_14TensorAccessorINS3_8ArrayRefIlEEKT_Lm4ENS6_16DefaultPtrTraitsEiEENS_6detail16IndexBoundsCheckILm5EiEESD_Lm5ESE_iEENS8_INS9_ISB_SC_Lm4ESE_iEESI_SC_Lm5ESE_iEESJ_iiiiiiiii: ; @_ZN2at6native12_GLOBAL__N_143conv_depthwise3d_cuda_backward_input_kernelIN3c108BFloat16EfLi3ELi3ELi3ELin1ELin1ELin1ELin1ELin1ELin1EEEvN5torch10headeronly6detail27GenericPackedTensorAccessorINS7_14TensorAccessorINS3_8ArrayRefIlEEKT_Lm4ENS6_16DefaultPtrTraitsEiEENS_6detail16IndexBoundsCheckILm5EiEESD_Lm5ESE_iEENS8_INS9_ISB_SC_Lm4ESE_iEESI_SC_Lm5ESE_iEESJ_iiiiiiiii
; %bb.0:
	s_mov_b64 s[102:103], s[2:3]
	s_mov_b64 s[100:101], s[0:1]
	s_clause 0x2
	s_load_dwordx4 s[44:47], s[4:5], 0x38
	s_load_dword s2, s[4:5], 0xc4
	s_load_dwordx2 s[64:65], s[4:5], 0x48
	s_add_u32 s100, s100, s7
	s_addc_u32 s101, s101, 0
                                        ; implicit-def: $vgpr127 : SGPR spill to VGPR lane
	s_waitcnt lgkmcnt(0)
	s_abs_i32 s76, s45
	s_add_u32 s0, s4, 0xb8
	v_cvt_f32_u32_e32 v1, s76
	s_addc_u32 s1, s5, 0
	s_and_b32 s2, s2, 0xffff
	v_rcp_iflag_f32_e32 v2, v1
	v_mov_b32_e32 v1, 0
	v_mad_u64_u32 v[0:1], null, s2, s6, v[0:1]
	s_mul_i32 s6, s65, s44
	v_mul_f32_e32 v2, 0x4f7ffffe, v2
	s_ashr_i32 s7, s6, 31
	v_writelane_b32 v127, s6, 0
	v_cmp_gt_i64_e32 vcc_lo, s[6:7], v[0:1]
	v_cvt_u32_f32_e32 v2, v2
	v_writelane_b32 v127, s7, 1
	v_readfirstlane_b32 s3, v2
	s_and_saveexec_b32 s6, vcc_lo
	s_cbranch_execz .LBB30_62
; %bb.1:
	s_clause 0x1
	s_load_dwordx4 s[56:59], s[4:5], 0xc
	s_load_dwordx2 s[12:13], s[4:5], 0x0
	s_sub_i32 s6, 0, s76
	s_load_dword s11, s[4:5], 0x7c
	s_mul_i32 s7, s6, s3
	s_load_dword s0, s[0:1], 0x0
	s_mul_hi_u32 s7, s3, s7
	s_ashr_i32 s9, s45, 31
	s_add_i32 s3, s3, s7
	s_clause 0x1
	s_load_dwordx8 s[48:55], s[4:5], 0x90
	s_load_dword s10, s[4:5], 0xb0
	v_mul_lo_u32 v3, s6, v2
	s_clause 0x3
	s_load_dwordx2 s[70:71], s[4:5], 0x1c
	s_load_dwordx2 s[72:73], s[4:5], 0x30
	;; [unrolled: 1-line block ×3, first 2 shown]
	s_load_dwordx4 s[60:63], s[4:5], 0x50
	s_mov_b32 s78, 0
	v_mul_hi_u32 v3, v2, v3
	s_waitcnt lgkmcnt(0)
	s_abs_i32 s7, s56
	v_writelane_b32 v127, s12, 2
	s_mul_hi_u32 s1, s7, s3
	s_ashr_i32 s3, s56, 31
	s_mul_i32 s8, s1, s76
	s_xor_b32 s3, s3, s9
	v_writelane_b32 v127, s13, 3
	s_sub_i32 s7, s7, s8
	s_add_i32 s8, s1, 1
	s_mul_i32 s0, s0, s2
	v_add_nc_u32_e32 v2, v2, v3
	v_writelane_b32 v127, s9, 4
	s_sub_i32 s9, s7, s76
	s_cmp_ge_u32 s7, s76
	s_cselect_b32 s1, s8, s1
	s_cselect_b32 s7, s9, s7
	s_add_i32 s8, s1, 1
	s_cmp_ge_u32 s7, s76
	v_writelane_b32 v127, s11, 5
	s_cselect_b32 s1, s8, s1
	buffer_store_dword v2, off, s[100:103], 0 offset:12 ; 4-byte Folded Spill
	s_xor_b32 s1, s1, s3
	s_sub_i32 s80, s1, s3
	v_writelane_b32 v127, s0, 6
	s_cmp_gt_i32 s80, 0
	s_cselect_b32 s0, -1, 0
	s_abs_i32 s86, s64
	v_writelane_b32 v127, s0, 7
	v_cvt_f32_u32_e32 v4, s86
	s_abs_i32 s87, s47
	s_abs_i32 s88, s46
	v_cvt_f32_u32_e32 v5, s87
	v_writelane_b32 v127, s10, 8
	v_rcp_iflag_f32_e32 v4, v4
	s_abs_i32 s89, s48
	s_abs_i32 s90, s49
	;; [unrolled: 1-line block ×3, first 2 shown]
	v_cvt_f32_u32_e32 v6, s88
	v_cvt_f32_u32_e32 v7, s89
	;; [unrolled: 1-line block ×4, first 2 shown]
	v_rcp_iflag_f32_e32 v5, v5
	s_lshl_b32 s0, s10, 1
	v_rcp_iflag_f32_e32 v6, v6
	v_writelane_b32 v127, s0, 9
	v_rcp_iflag_f32_e32 v7, v7
	v_rcp_iflag_f32_e32 v8, v8
	;; [unrolled: 1-line block ×3, first 2 shown]
	v_mul_f32_e32 v4, 0x4f7ffffe, v4
	s_lshl_b32 s0, s55, 1
	s_sub_i32 s1, 0, s87
	v_writelane_b32 v127, s0, 10
	v_mul_f32_e32 v5, 0x4f7ffffe, v5
	v_cvt_u32_f32_e32 v4, v4
	s_lshl_b32 s0, s54, 1
	v_mul_f32_e32 v6, 0x4f7ffffe, v6
	v_writelane_b32 v127, s0, 11
	s_sub_i32 s0, 0, s86
	v_mul_f32_e32 v7, 0x4f7ffffe, v7
	v_mul_f32_e32 v8, 0x4f7ffffe, v8
	;; [unrolled: 1-line block ×3, first 2 shown]
	v_cvt_u32_f32_e32 v5, v5
	v_mul_lo_u32 v10, s0, v4
	v_cvt_u32_f32_e32 v6, v6
	v_cvt_u32_f32_e32 v7, v7
	;; [unrolled: 1-line block ×3, first 2 shown]
	v_mul_lo_u32 v11, s1, v5
	v_cvt_u32_f32_e32 v9, v9
	s_sub_i32 s2, 0, s88
	s_sub_i32 s3, 0, s89
	;; [unrolled: 1-line block ×4, first 2 shown]
	v_mul_hi_u32 v10, v4, v10
	v_mul_lo_u32 v12, s2, v6
	v_mul_lo_u32 v13, s3, v7
	;; [unrolled: 1-line block ×4, first 2 shown]
	v_mul_hi_u32 v11, v5, v11
	s_ashr_i32 s0, s64, 31
	s_ashr_i32 s95, s48, 31
	v_writelane_b32 v127, s0, 12
	v_add_nc_u32_e32 v4, v4, v10
	v_mul_hi_u32 v12, v6, v12
	v_mul_hi_u32 v13, v7, v13
	;; [unrolled: 1-line block ×4, first 2 shown]
	s_ashr_i32 s0, s47, 31
	buffer_store_dword v4, off, s[100:103], 0 ; 4-byte Folded Spill
	v_writelane_b32 v127, s0, 13
	v_add_nc_u32_e32 v4, v5, v11
	s_ashr_i32 s0, s46, 31
	v_add_nc_u32_e32 v2, v7, v13
	v_add_nc_u32_e32 v65, v8, v14
	v_writelane_b32 v127, s0, 14
	buffer_store_dword v4, off, s[100:103], 0 offset:4 ; 4-byte Folded Spill
	v_add_nc_u32_e32 v4, v6, v12
	v_add_nc_u32_e32 v66, v9, v15
	s_ashr_i32 s96, s49, 31
	s_ashr_i32 s97, s50, 31
	buffer_store_dword v2, off, s[100:103], 0 offset:16 ; 4-byte Folded Spill
	buffer_store_dword v4, off, s[100:103], 0 offset:8 ; 4-byte Folded Spill
	s_branch .LBB30_4
.LBB30_2:                               ;   in Loop: Header=BB30_4 Depth=1
	s_or_b32 exec_lo, exec_lo, s41
.LBB30_3:                               ;   in Loop: Header=BB30_4 Depth=1
	v_mul_lo_u32 v2, v70, s65
	v_mul_lo_u32 v4, s60, v71
	v_bfe_u32 v5, v76, 16, 1
	v_mul_lo_u32 v6, s61, v69
	v_mul_lo_u32 v8, s62, v68
	;; [unrolled: 1-line block ×3, first 2 shown]
	v_cmp_o_f32_e32 vcc_lo, v76, v76
	v_add3_u32 v13, v76, v5, 0x7fff
	v_ashrrev_i32_e32 v3, 31, v2
	v_ashrrev_i32_e32 v5, 31, v4
	v_mov_b32_e32 v12, 0x7fc0
	v_ashrrev_i32_e32 v7, 31, v6
	v_ashrrev_i32_e32 v9, 31, v8
	v_lshlrev_b64 v[2:3], 1, v[2:3]
	v_lshlrev_b64 v[4:5], 1, v[4:5]
	v_ashrrev_i32_e32 v11, 31, v10
	v_add_co_u32 v14, s0, s72, v2
	v_add_co_ci_u32_e64 v15, null, s73, v3, s0
	v_lshlrev_b64 v[2:3], 1, v[6:7]
	v_add_co_u32 v4, s0, v14, v4
	v_add_co_ci_u32_e64 v5, null, v15, v5, s0
	v_cndmask_b32_sdwa v6, v12, v13, vcc_lo dst_sel:DWORD dst_unused:UNUSED_PAD src0_sel:DWORD src1_sel:WORD_1
	v_add_co_u32 v7, vcc_lo, v4, v2
	v_readlane_b32 s0, v127, 6
	v_add_co_ci_u32_e64 v12, null, v5, v3, vcc_lo
	v_lshlrev_b64 v[2:3], 1, v[8:9]
	v_lshlrev_b64 v[4:5], 1, v[10:11]
	v_add_co_u32 v0, vcc_lo, v0, s0
	v_readlane_b32 s0, v127, 0
	v_add_co_ci_u32_e64 v1, null, 0, v1, vcc_lo
	v_readlane_b32 s1, v127, 1
	v_add_co_u32 v2, vcc_lo, v7, v2
	v_add_co_ci_u32_e64 v3, null, v12, v3, vcc_lo
	v_cmp_le_i64_e32 vcc_lo, s[0:1], v[0:1]
	v_add_co_u32 v2, s0, v2, v4
	v_add_co_ci_u32_e64 v3, null, v3, v5, s0
	s_or_b32 s78, vcc_lo, s78
	global_store_short v[2:3], v6, off
	s_andn2_b32 exec_lo, exec_lo, s78
	s_cbranch_execz .LBB30_62
.LBB30_4:                               ; =>This Loop Header: Depth=1
                                        ;     Child Loop BB30_7 Depth 2
	buffer_load_dword v3, off, s[100:103], 0 ; 4-byte Folded Reload
	v_sub_nc_u32_e32 v2, 0, v0
	v_readlane_b32 s0, v127, 12
	v_max_i32_e32 v2, v0, v2
	s_waitcnt vmcnt(0)
	v_mul_hi_u32 v3, v2, v3
	v_mul_lo_u32 v4, v3, s86
	v_sub_nc_u32_e32 v2, v2, v4
	v_add_nc_u32_e32 v4, 1, v3
	v_subrev_nc_u32_e32 v5, s86, v2
	v_cmp_le_u32_e32 vcc_lo, s86, v2
	v_cndmask_b32_e32 v3, v3, v4, vcc_lo
	v_cndmask_b32_e32 v2, v2, v5, vcc_lo
	v_ashrrev_i32_e32 v4, 31, v0
	v_add_nc_u32_e32 v5, 1, v3
	v_cmp_le_u32_e32 vcc_lo, s86, v2
	v_xor_b32_e32 v4, s0, v4
	v_readlane_b32 s0, v127, 13
	v_cndmask_b32_e32 v2, v3, v5, vcc_lo
	v_xor_b32_e32 v2, v2, v4
	v_sub_nc_u32_e32 v2, v2, v4
	buffer_load_dword v4, off, s[100:103], 0 offset:4 ; 4-byte Folded Reload
	v_sub_nc_u32_e32 v3, 0, v2
	v_max_i32_e32 v3, v2, v3
	s_waitcnt vmcnt(0)
	v_mul_hi_u32 v4, v3, v4
	v_mul_lo_u32 v5, v4, s87
	v_sub_nc_u32_e32 v3, v3, v5
	v_add_nc_u32_e32 v5, 1, v4
	v_subrev_nc_u32_e32 v6, s87, v3
	v_cmp_le_u32_e32 vcc_lo, s87, v3
	v_cndmask_b32_e32 v4, v4, v5, vcc_lo
	v_cndmask_b32_e32 v3, v3, v6, vcc_lo
	v_ashrrev_i32_e32 v5, 31, v2
	v_add_nc_u32_e32 v6, 1, v4
	v_cmp_le_u32_e32 vcc_lo, s87, v3
	v_xor_b32_e32 v5, s0, v5
	v_readlane_b32 s0, v127, 14
	v_cndmask_b32_e32 v3, v4, v6, vcc_lo
	v_xor_b32_e32 v3, v3, v5
	v_sub_nc_u32_e32 v3, v3, v5
	buffer_load_dword v5, off, s[100:103], 0 offset:8 ; 4-byte Folded Reload
	v_sub_nc_u32_e32 v4, 0, v3
	;; [unrolled: 20-line block ×3, first 2 shown]
	v_max_i32_e32 v5, v4, v5
	s_waitcnt vmcnt(0)
	v_mul_hi_u32 v6, v5, v6
	v_mul_lo_u32 v7, v6, s76
	v_sub_nc_u32_e32 v5, v5, v7
	v_add_nc_u32_e32 v7, 1, v6
	v_subrev_nc_u32_e32 v8, s76, v5
	v_cmp_le_u32_e32 vcc_lo, s76, v5
	v_cndmask_b32_e32 v6, v6, v7, vcc_lo
	v_cndmask_b32_e32 v5, v5, v8, vcc_lo
	v_ashrrev_i32_e32 v7, 31, v4
	v_add_nc_u32_e32 v8, 1, v6
	v_cmp_le_u32_e32 vcc_lo, s76, v5
	v_xor_b32_e32 v7, s0, v7
	v_readlane_b32 s0, v127, 7
	v_cndmask_b32_e32 v5, v6, v8, vcc_lo
	v_mul_lo_u32 v6, v3, s47
	s_andn2_b32 vcc_lo, exec_lo, s0
	v_xor_b32_e32 v5, v5, v7
	v_sub_nc_u32_e32 v68, v2, v6
	v_sub_nc_u32_e32 v70, v5, v7
	v_mul_lo_u32 v5, v2, s64
	v_mul_lo_u32 v7, v4, s46
	;; [unrolled: 1-line block ×3, first 2 shown]
	v_sub_nc_u32_e32 v67, v0, v5
	v_sub_nc_u32_e32 v69, v3, v7
	;; [unrolled: 1-line block ×3, first 2 shown]
	s_cbranch_vccnz .LBB30_61
; %bb.5:                                ;   in Loop: Header=BB30_4 Depth=1
	v_mul_lo_u32 v72, v71, s80
	v_readlane_b32 s0, v127, 5
	v_add_nc_u32_e32 v4, s53, v67
	v_readlane_b32 s1, v127, 9
	buffer_load_dword v12, off, s[100:103], 0 offset:16 ; 4-byte Folded Reload
	v_mul_lo_u32 v2, s0, v72
	v_readlane_b32 s0, v127, 8
	v_subrev_nc_u32_e32 v5, s0, v4
	v_ashrrev_i32_e32 v3, 31, v2
	v_sub_nc_u32_e32 v6, 0, v5
	v_lshlrev_b64 v[2:3], 1, v[2:3]
	v_max_i32_e32 v6, v5, v6
	v_add_co_u32 v2, vcc_lo, s74, v2
	v_mul_hi_u32 v7, v6, v66
	v_add_co_ci_u32_e64 v3, null, s75, v3, vcc_lo
	v_mul_lo_u32 v8, v7, s91
	v_sub_nc_u32_e32 v6, v6, v8
	v_add_nc_u32_e32 v8, 1, v7
	v_cmp_le_u32_e32 vcc_lo, s91, v6
	v_cndmask_b32_e32 v7, v7, v8, vcc_lo
	v_subrev_nc_u32_e32 v8, s91, v6
	v_cndmask_b32_e32 v6, v6, v8, vcc_lo
	v_add_nc_u32_e32 v8, 1, v7
	v_cmp_le_u32_e32 vcc_lo, s91, v6
	v_cndmask_b32_e32 v6, v7, v8, vcc_lo
	v_ashrrev_i32_e32 v7, 31, v5
	v_xor_b32_e32 v7, s97, v7
	v_xor_b32_e32 v6, v6, v7
	v_sub_nc_u32_e32 v22, v6, v7
	v_mul_lo_u32 v6, v22, s50
	v_cmp_gt_i32_e64 s43, s59, v22
	v_cmp_eq_u32_e32 vcc_lo, v6, v5
	v_sub_nc_u32_e32 v5, 0, v4
	v_max_i32_e32 v5, v4, v5
	v_mul_hi_u32 v6, v5, v66
	v_mul_lo_u32 v7, v6, s91
	v_sub_nc_u32_e32 v5, v5, v7
	v_add_nc_u32_e32 v7, 1, v6
	v_cmp_le_u32_e64 s0, s91, v5
	v_cndmask_b32_e64 v6, v6, v7, s0
	v_subrev_nc_u32_e32 v7, s91, v5
	v_cndmask_b32_e64 v5, v5, v7, s0
	v_add_nc_u32_e32 v7, 1, v6
	v_cmp_le_u32_e64 s0, s91, v5
	v_cndmask_b32_e64 v5, v6, v7, s0
	v_ashrrev_i32_e32 v6, 31, v4
	v_xor_b32_e32 v6, s97, v6
	v_xor_b32_e32 v5, v5, v6
	v_sub_nc_u32_e32 v23, v5, v6
	v_mul_lo_u32 v5, v23, s50
	v_cmp_gt_i32_e64 s42, s59, v23
	v_cmp_eq_u32_e64 s0, v5, v4
	v_subrev_nc_u32_e32 v4, s1, v4
	v_sub_nc_u32_e32 v5, 0, v4
	v_max_i32_e32 v5, v4, v5
	v_mul_hi_u32 v6, v5, v66
	v_mul_lo_u32 v7, v6, s91
	v_sub_nc_u32_e32 v5, v5, v7
	v_add_nc_u32_e32 v7, 1, v6
	v_cmp_le_u32_e64 s1, s91, v5
	v_cndmask_b32_e64 v6, v6, v7, s1
	v_subrev_nc_u32_e32 v7, s91, v5
	v_cndmask_b32_e64 v5, v5, v7, s1
	v_add_nc_u32_e32 v7, 1, v6
	v_cmp_le_u32_e64 s1, s91, v5
	v_cndmask_b32_e64 v5, v6, v7, s1
	v_ashrrev_i32_e32 v6, 31, v4
	v_xor_b32_e32 v6, s97, v6
	v_xor_b32_e32 v5, v5, v6
	v_sub_nc_u32_e32 v24, v5, v6
	v_mul_lo_u32 v5, v24, s50
	v_cmp_gt_i32_e64 s44, s59, v24
	v_cmp_eq_u32_e64 s1, v5, v4
	v_add_nc_u32_e32 v5, s52, v68
	v_subrev_nc_u32_e32 v6, s55, v5
	v_sub_nc_u32_e32 v4, 0, v6
	v_max_i32_e32 v4, v6, v4
	v_mul_hi_u32 v7, v4, v65
	v_mul_lo_u32 v8, v7, s90
	v_sub_nc_u32_e32 v4, v4, v8
	v_add_nc_u32_e32 v8, 1, v7
	v_cmp_le_u32_e64 s2, s90, v4
	v_cndmask_b32_e64 v7, v7, v8, s2
	v_subrev_nc_u32_e32 v8, s90, v4
	v_cndmask_b32_e64 v4, v4, v8, s2
	v_add_nc_u32_e32 v8, 1, v7
	v_cmp_le_u32_e64 s2, s90, v4
	v_cndmask_b32_e64 v4, v7, v8, s2
	v_ashrrev_i32_e32 v7, 31, v6
	v_xor_b32_e32 v7, s96, v7
	v_xor_b32_e32 v4, v4, v7
	v_sub_nc_u32_e32 v4, v4, v7
	v_mul_lo_u32 v7, v4, s49
	v_cmp_gt_i32_e64 s36, s58, v4
	s_and_b32 s94, s42, s36
	s_and_b32 s66, s43, s36
	v_cmp_eq_u32_e64 s3, v7, v6
	v_sub_nc_u32_e32 v6, 0, v5
	s_and_b32 s67, s44, s36
	v_max_i32_e32 v6, v5, v6
	v_mul_hi_u32 v7, v6, v65
	v_mul_lo_u32 v8, v7, s90
	v_sub_nc_u32_e32 v6, v6, v8
	v_subrev_nc_u32_e32 v8, s90, v6
	v_cmp_le_u32_e64 s2, s90, v6
	v_cndmask_b32_e64 v6, v6, v8, s2
	v_add_nc_u32_e32 v8, 1, v7
	v_cndmask_b32_e64 v7, v7, v8, s2
	v_cmp_le_u32_e64 s2, s90, v6
	v_add_nc_u32_e32 v8, 1, v7
	v_cndmask_b32_e64 v6, v7, v8, s2
	v_ashrrev_i32_e32 v7, 31, v5
	v_readlane_b32 s2, v127, 10
	v_xor_b32_e32 v7, s96, v7
	v_xor_b32_e32 v6, v6, v7
	v_sub_nc_u32_e32 v6, v6, v7
	v_mul_lo_u32 v7, v6, s49
	v_cmp_gt_i32_e64 s37, s58, v6
	s_and_b32 s77, s42, s37
	s_and_b32 s81, s43, s37
	v_cmp_eq_u32_e64 s7, v7, v5
	v_subrev_nc_u32_e32 v7, s2, v5
	s_and_b32 s82, s44, s37
	v_sub_nc_u32_e32 v5, 0, v7
	v_max_i32_e32 v5, v7, v5
	v_mul_hi_u32 v8, v5, v65
	v_mul_lo_u32 v9, v8, s90
	v_sub_nc_u32_e32 v5, v5, v9
	v_subrev_nc_u32_e32 v9, s90, v5
	v_cmp_le_u32_e64 s2, s90, v5
	v_cndmask_b32_e64 v5, v5, v9, s2
	v_add_nc_u32_e32 v9, 1, v8
	v_cndmask_b32_e64 v8, v8, v9, s2
	v_cmp_le_u32_e64 s2, s90, v5
	v_add_nc_u32_e32 v9, 1, v8
	v_cndmask_b32_e64 v5, v8, v9, s2
	v_ashrrev_i32_e32 v8, 31, v7
	v_add_nc_u32_e32 v9, s51, v69
	v_xor_b32_e32 v8, s96, v8
	v_xor_b32_e32 v5, v5, v8
	v_sub_nc_u32_e32 v5, v5, v8
	v_mul_lo_u32 v8, v5, s49
	v_cmp_gt_i32_e64 s35, s58, v5
	s_and_b32 s68, s42, s35
	s_and_b32 s92, s43, s35
	v_cmp_eq_u32_e64 s2, v8, v7
	v_subrev_nc_u32_e32 v8, s54, v9
	s_and_b32 s93, s44, s35
	v_sub_nc_u32_e32 v7, 0, v8
	v_max_i32_e32 v7, v8, v7
	s_waitcnt vmcnt(0)
	v_mul_hi_u32 v10, v7, v12
	v_mul_lo_u32 v11, v10, s89
	v_sub_nc_u32_e32 v7, v7, v11
	v_subrev_nc_u32_e32 v11, s89, v7
	v_cmp_le_u32_e64 s4, s89, v7
	v_cndmask_b32_e64 v7, v7, v11, s4
	v_add_nc_u32_e32 v11, 1, v10
	v_cndmask_b32_e64 v10, v10, v11, s4
	v_cmp_le_u32_e64 s4, s89, v7
	v_add_nc_u32_e32 v11, 1, v10
	v_cndmask_b32_e64 v7, v10, v11, s4
	v_ashrrev_i32_e32 v10, 31, v8
	v_xor_b32_e32 v10, s95, v10
	v_xor_b32_e32 v7, v7, v10
	v_sub_nc_u32_e32 v7, v7, v10
	v_mul_lo_u32 v10, v7, s48
	v_cmp_gt_i32_e64 s33, s57, v7
	v_cmp_eq_u32_e64 s20, v10, v8
	v_sub_nc_u32_e32 v8, 0, v9
	s_and_b32 s69, s20, s3
	v_max_i32_e32 v8, v9, v8
	v_mul_hi_u32 v10, v8, v12
	v_mul_lo_u32 v11, v10, s89
	v_sub_nc_u32_e32 v8, v8, v11
	v_subrev_nc_u32_e32 v11, s89, v8
	v_cmp_le_u32_e64 s4, s89, v8
	v_cndmask_b32_e64 v8, v8, v11, s4
	v_add_nc_u32_e32 v11, 1, v10
	v_cndmask_b32_e64 v10, v10, v11, s4
	v_cmp_le_u32_e64 s4, s89, v8
	v_add_nc_u32_e32 v11, 1, v10
	v_cndmask_b32_e64 v8, v10, v11, s4
	v_ashrrev_i32_e32 v10, 31, v9
	v_readlane_b32 s4, v127, 11
	v_xor_b32_e32 v10, s95, v10
	v_xor_b32_e32 v8, v8, v10
	v_sub_nc_u32_e32 v8, v8, v10
	v_mul_lo_u32 v10, v8, s48
	v_cmp_gt_i32_e64 s34, s57, v8
	v_cmp_eq_u32_e64 s11, v10, v9
	v_subrev_nc_u32_e32 v10, s4, v9
	s_and_b32 s56, s11, s7
	v_sub_nc_u32_e32 v9, 0, v10
	v_max_i32_e32 v9, v10, v9
	v_mul_hi_u32 v11, v9, v12
	v_mul_lo_u32 v12, v11, s89
	v_sub_nc_u32_e32 v9, v9, v12
	v_subrev_nc_u32_e32 v12, s89, v9
	v_cmp_le_u32_e64 s4, s89, v9
	v_cndmask_b32_e64 v9, v9, v12, s4
	v_add_nc_u32_e32 v12, 1, v11
	v_cndmask_b32_e64 v11, v11, v12, s4
	v_cmp_le_u32_e64 s4, s89, v9
	v_add_nc_u32_e32 v12, 1, v11
	v_cndmask_b32_e64 v9, v11, v12, s4
	v_ashrrev_i32_e32 v11, 31, v10
	v_readlane_b32 s4, v127, 2
	v_readlane_b32 s5, v127, 3
	v_xor_b32_e32 v11, s95, v11
	v_xor_b32_e32 v9, v9, v11
	v_sub_nc_u32_e32 v9, v9, v11
	v_mul_lo_u32 v11, v9, s48
	v_cmp_gt_i32_e64 s28, s57, v9
	v_cmp_eq_u32_e64 s27, v11, v10
	v_mul_lo_u32 v10, s70, v70
	v_ashrrev_i32_e32 v11, 31, v10
	v_lshlrev_b64 v[10:11], 1, v[10:11]
	v_add_co_u32 v73, s4, s4, v10
	v_or_b32_e32 v10, v23, v6
	v_add_co_ci_u32_e64 v74, null, s5, v11, s4
	v_or_b32_e32 v11, v10, v8
	v_cmp_lt_i32_e64 s5, -1, v11
	v_or_b32_e32 v11, v22, v6
	s_and_b32 s5, s77, s5
	v_or_b32_e32 v12, v11, v8
	s_and_b32 s98, s5, s34
	v_cmp_lt_i32_e64 s4, -1, v12
	v_or_b32_e32 v12, v24, v6
	s_and_b32 s5, s81, s4
	v_or_b32_e32 v13, v12, v8
	s_and_b32 s4, s56, s0
	s_and_b32 s99, s5, s34
	s_and_b32 s5, s56, vcc_lo
	v_cmp_lt_i32_e64 s6, -1, v13
	v_or_b32_e32 v13, v23, v4
	s_and_b32 s6, s82, s6
	v_or_b32_e32 v14, v13, v8
	s_and_b32 s37, s6, s34
	s_and_b32 s6, s56, s1
	;; [unrolled: 1-line block ×3, first 2 shown]
	v_cmp_lt_i32_e64 s10, -1, v14
	v_or_b32_e32 v14, v22, v4
	s_and_b32 s10, s94, s10
	v_or_b32_e32 v15, v14, v8
	s_and_b32 s104, s10, s34
	v_cmp_lt_i32_e64 s8, -1, v15
	v_or_b32_e32 v15, v24, v4
	s_and_b32 s10, s66, s8
	v_or_b32_e32 v16, v15, v8
	s_and_b32 vcc_hi, s10, s34
	s_and_b32 s8, s56, s0
	v_cmp_lt_i32_e64 s9, -1, v16
	v_or_b32_e32 v16, v23, v5
	s_and_b32 s10, s67, s9
	v_or_b32_e32 v17, v16, v8
	s_and_b32 s9, s56, vcc_lo
	s_and_b32 s36, s10, s34
	s_and_b32 s10, s56, s1
	;; [unrolled: 1-line block ×3, first 2 shown]
	v_cmp_lt_i32_e64 s30, -1, v17
	v_or_b32_e32 v17, v22, v5
	s_and_b32 s11, s56, s0
	s_and_b32 s30, s68, s30
	v_or_b32_e32 v18, v17, v8
	s_and_b32 s30, s30, s34
	v_cmp_lt_i32_e64 s12, -1, v18
	v_or_b32_e32 v18, v24, v5
	s_and_b32 s12, s92, s12
	v_or_b32_e32 v19, v18, v8
	s_and_b32 s42, s12, s34
	s_and_b32 s12, s56, vcc_lo
	v_cmp_lt_i32_e64 s13, -1, v19
	v_or_b32_e32 v19, v10, v7
	v_or_b32_e32 v10, v10, v9
	s_and_b32 s13, s93, s13
	v_cmp_lt_i32_e64 s16, -1, v19
	v_or_b32_e32 v19, v11, v7
	v_cmp_lt_i32_e64 s24, -1, v10
	v_or_b32_e32 v10, v11, v9
	v_or_b32_e32 v11, v16, v9
	s_and_b32 s16, s77, s16
	v_cmp_lt_i32_e64 s14, -1, v19
	v_or_b32_e32 v19, v12, v7
	;; [unrolled: 6-line block ×3, first 2 shown]
	v_cmp_lt_i32_e64 s29, -1, v10
	v_or_b32_e32 v10, v13, v9
	v_mul_lo_u32 v13, v8, s58
	s_and_b32 s16, s81, s14
	v_cmp_lt_i32_e64 s19, -1, v19
	v_or_b32_e32 v19, v14, v7
	v_cmp_lt_i32_e64 s26, -1, v10
	v_or_b32_e32 v10, v14, v9
	s_and_b32 s34, s13, s34
	s_and_b32 s13, s56, s1
	v_cmp_lt_i32_e64 s17, -1, v19
	v_or_b32_e32 v19, v15, v7
	v_mul_lo_u32 v15, v7, s58
	v_cmp_lt_i32_e64 s31, -1, v10
	v_or_b32_e32 v10, v17, v9
	v_add_nc_u32_e32 v8, v4, v13
	v_cmp_lt_i32_e64 s18, -1, v19
	v_or_b32_e32 v19, v16, v7
	v_mul_lo_u32 v16, v9, s58
	v_add_nc_u32_e32 v14, v5, v13
	v_add_nc_u32_e32 v20, v6, v15
	;; [unrolled: 1-line block ×3, first 2 shown]
	v_cmp_lt_i32_e64 s22, -1, v19
	v_or_b32_e32 v19, v17, v7
	v_add_nc_u32_e32 v29, v4, v15
	v_mul_lo_u32 v34, v20, s59
	v_add_nc_u32_e32 v27, v6, v16
	v_add_nc_u32_e32 v26, v4, v16
	v_cmp_lt_i32_e64 s21, -1, v19
	v_or_b32_e32 v19, v18, v7
	v_or_b32_e32 v7, v18, v9
	v_add_nc_u32_e32 v9, v6, v13
	v_add_nc_u32_e32 v25, v5, v16
	v_mul_lo_u32 v28, v28, s59
	v_mul_lo_u32 v27, v27, s59
	;; [unrolled: 1-line block ×8, first 2 shown]
	v_cmp_lt_i32_e64 s23, -1, v19
	s_and_b32 s22, s68, s22
	s_and_b32 s56, s20, s7
	v_add_nc_u32_e32 v30, v23, v34
	s_and_b32 s43, s16, s33
	v_add_nc_u32_e32 v32, v22, v34
	;; [unrolled: 2-line block ×3, first 2 shown]
	s_and_b32 s19, s94, s19
	s_and_b32 s85, s22, s33
	v_add_nc_u32_e32 v42, v23, v28
	s_and_b32 s22, s93, s23
	s_and_b32 s23, s77, s24
	v_add_nc_u32_e32 v50, v22, v27
	v_add_nc_u32_e32 v58, v24, v26
	v_cmp_lt_i32_e64 s40, -1, v12
	v_cmp_lt_i32_e64 s38, -1, v10
	v_add_nc_u32_e32 v4, v23, v9
	v_add_nc_u32_e32 v6, v22, v9
	;; [unrolled: 1-line block ×9, first 2 shown]
	s_and_b32 s14, s56, s0
	s_and_b32 s15, s56, vcc_lo
	s_and_b32 s44, s16, s33
	s_and_b32 s16, s56, s1
	;; [unrolled: 1-line block ×3, first 2 shown]
	v_add_nc_u32_e32 v36, v23, v29
	s_and_b32 s19, s66, s17
	v_add_nc_u32_e32 v38, v22, v29
	v_add_nc_u32_e32 v40, v24, v29
	;; [unrolled: 1-line block ×4, first 2 shown]
	s_and_b32 s77, s23, s28
	v_add_nc_u32_e32 v48, v23, v27
	s_and_b32 s23, s81, s25
	s_and_b32 s25, s82, s29
	v_add_nc_u32_e32 v52, v24, v27
	v_add_nc_u32_e32 v54, v23, v26
	;; [unrolled: 1-line block ×6, first 2 shown]
	s_and_b32 s83, s19, s33
	s_and_b32 s19, s67, s18
	;; [unrolled: 1-line block ×4, first 2 shown]
	v_ashrrev_i32_e32 v35, 31, v34
	v_ashrrev_i32_e32 v43, 31, v42
	;; [unrolled: 1-line block ×4, first 2 shown]
	s_and_b32 s17, s69, s0
	s_and_b32 s18, s69, vcc_lo
	s_and_b32 s84, s19, s33
	s_and_b32 s19, s69, s1
	;; [unrolled: 1-line block ×9, first 2 shown]
	v_cmp_lt_i32_e64 s41, -1, v11
	v_cmp_lt_i32_e64 s39, -1, v7
	v_ashrrev_i32_e32 v5, 31, v4
	v_ashrrev_i32_e32 v7, 31, v6
	;; [unrolled: 1-line block ×23, first 2 shown]
	s_and_b32 s20, s69, s0
	s_and_b32 s79, s21, s33
	s_and_b32 s21, s69, vcc_lo
	s_and_b32 s33, s22, s33
	s_and_b32 s22, s69, s1
	;; [unrolled: 1-line block ×4, first 2 shown]
	s_and_b32 s23, s24, vcc_lo
	s_and_b32 s24, s24, s1
	s_and_b32 s3, s26, s0
	;; [unrolled: 1-line block ×3, first 2 shown]
	s_and_b32 s25, s26, vcc_lo
	s_and_b32 s26, s26, s1
	s_and_b32 s0, s2, s0
	s_and_b32 vcc_lo, s2, vcc_lo
	s_and_b32 s1, s2, s1
	s_mul_i32 s2, s71, s80
	v_lshlrev_b64 v[26:27], 1, v[34:35]
	v_lshlrev_b64 v[34:35], 1, v[42:43]
	;; [unrolled: 1-line block ×4, first 2 shown]
	v_mul_lo_u32 v58, s2, v71
	v_lshlrev_b64 v[4:5], 1, v[4:5]
	v_lshlrev_b64 v[6:7], 1, v[6:7]
	;; [unrolled: 1-line block ×23, first 2 shown]
	v_add_nc_u32_e32 v75, s80, v72
	v_mov_b32_e32 v76, 0
	s_and_b32 s40, s67, s40
	s_and_b32 s41, s68, s41
	;; [unrolled: 1-line block ×6, first 2 shown]
	s_mov_b32 s41, 0
	s_and_b32 s38, s38, s28
	s_and_b32 s28, s39, s28
	s_branch .LBB30_7
.LBB30_6:                               ;   in Loop: Header=BB30_7 Depth=2
	s_or_b32 exec_lo, exec_lo, s39
	s_waitcnt vmcnt(26)
	v_lshlrev_b32_e32 v77, 16, v77
	s_waitcnt vmcnt(2)
	v_lshlrev_b32_e32 v60, 16, v60
	v_add_nc_u32_e32 v72, 1, v72
	v_add_co_u32 v2, s2, v2, 54
	v_fma_f32 v59, v59, v77, v76
	v_add_co_ci_u32_e64 v3, null, 0, v3, s2
	v_cmp_ge_i32_e64 s2, v72, v75
	v_add_nc_u32_e32 v58, s71, v58
	v_cndmask_b32_e64 v59, v76, v59, s4
	v_lshlrev_b32_e32 v76, 16, v80
	s_or_b32 s41, s2, s41
	v_fma_f32 v76, v82, v76, v59
	v_cndmask_b32_e64 v59, v59, v76, s5
	v_lshlrev_b32_e32 v76, 16, v83
	v_fma_f32 v76, v81, v76, v59
	v_cndmask_b32_e64 v59, v59, v76, s6
	v_lshlrev_b32_e32 v76, 16, v84
	;; [unrolled: 3-line block ×22, first 2 shown]
	v_fma_f32 v76, v126, v76, v59
	v_cndmask_b32_e64 v59, v59, v76, s26
	v_fma_f32 v60, v123, v60, v59
	v_cndmask_b32_e64 v59, v59, v60, s0
	s_waitcnt vmcnt(1)
	v_lshlrev_b32_e32 v60, 16, v62
	v_fma_f32 v60, v63, v60, v59
	v_cndmask_b32_e32 v59, v59, v60, vcc_lo
	s_waitcnt vmcnt(0)
	v_lshlrev_b32_e32 v60, 16, v64
	v_fma_f32 v60, v61, v60, v59
	v_cndmask_b32_e64 v76, v59, v60, s1
	s_andn2_b32 exec_lo, exec_lo, s41
	s_cbranch_execz .LBB30_2
.LBB30_7:                               ;   Parent Loop BB30_4 Depth=1
                                        ; =>  This Inner Loop Header: Depth=2
	global_load_ushort v77, v[2:3], off
	v_ashrrev_i32_e32 v59, 31, v58
	v_lshlrev_b64 v[59:60], 1, v[58:59]
	v_add_co_u32 v78, s2, v73, v59
	v_add_co_ci_u32_e64 v79, null, v74, v60, s2
	v_mov_b32_e32 v59, 0
	s_and_saveexec_b32 s39, s98
	s_cbranch_execz .LBB30_9
; %bb.8:                                ;   in Loop: Header=BB30_7 Depth=2
	v_add_co_u32 v59, s2, v78, v4
	v_add_co_ci_u32_e64 v60, null, v79, v5, s2
	global_load_ushort v59, v[59:60], off
	s_waitcnt vmcnt(0)
	v_lshlrev_b32_e32 v59, 16, v59
.LBB30_9:                               ;   in Loop: Header=BB30_7 Depth=2
	s_or_b32 exec_lo, exec_lo, s39
	global_load_ushort v80, v[2:3], off offset:2
	v_mov_b32_e32 v81, 0
	v_mov_b32_e32 v82, 0
	s_and_saveexec_b32 s39, s99
	s_cbranch_execz .LBB30_11
; %bb.10:                               ;   in Loop: Header=BB30_7 Depth=2
	v_add_co_u32 v60, s2, v78, v6
	v_add_co_ci_u32_e64 v61, null, v79, v7, s2
	global_load_ushort v60, v[60:61], off
	s_waitcnt vmcnt(0)
	v_lshlrev_b32_e32 v82, 16, v60
.LBB30_11:                              ;   in Loop: Header=BB30_7 Depth=2
	s_or_b32 exec_lo, exec_lo, s39
	global_load_ushort v83, v[2:3], off offset:4
	s_and_saveexec_b32 s39, s37
	s_cbranch_execz .LBB30_13
; %bb.12:                               ;   in Loop: Header=BB30_7 Depth=2
	v_add_co_u32 v60, s2, v78, v8
	v_add_co_ci_u32_e64 v61, null, v79, v9, s2
	global_load_ushort v60, v[60:61], off
	s_waitcnt vmcnt(0)
	v_lshlrev_b32_e32 v81, 16, v60
.LBB30_13:                              ;   in Loop: Header=BB30_7 Depth=2
	s_or_b32 exec_lo, exec_lo, s39
	global_load_ushort v84, v[2:3], off offset:6
	v_mov_b32_e32 v85, 0
	v_mov_b32_e32 v86, 0
	s_and_saveexec_b32 s39, s104
	s_cbranch_execz .LBB30_15
; %bb.14:                               ;   in Loop: Header=BB30_7 Depth=2
	v_add_co_u32 v60, s2, v78, v10
	v_add_co_ci_u32_e64 v61, null, v79, v11, s2
	global_load_ushort v60, v[60:61], off
	s_waitcnt vmcnt(0)
	v_lshlrev_b32_e32 v86, 16, v60
.LBB30_15:                              ;   in Loop: Header=BB30_7 Depth=2
	s_or_b32 exec_lo, exec_lo, s39
	global_load_ushort v87, v[2:3], off offset:8
	s_and_saveexec_b32 s39, vcc_hi
	s_cbranch_execz .LBB30_17
; %bb.16:                               ;   in Loop: Header=BB30_7 Depth=2
	v_add_co_u32 v60, s2, v78, v12
	v_add_co_ci_u32_e64 v61, null, v79, v13, s2
	global_load_ushort v60, v[60:61], off
	s_waitcnt vmcnt(0)
	v_lshlrev_b32_e32 v85, 16, v60
.LBB30_17:                              ;   in Loop: Header=BB30_7 Depth=2
	s_or_b32 exec_lo, exec_lo, s39
	global_load_ushort v88, v[2:3], off offset:10
	v_mov_b32_e32 v89, 0
	v_mov_b32_e32 v90, 0
	s_and_saveexec_b32 s39, s36
	s_cbranch_execz .LBB30_19
; %bb.18:                               ;   in Loop: Header=BB30_7 Depth=2
	v_add_co_u32 v60, s2, v78, v14
	v_add_co_ci_u32_e64 v61, null, v79, v15, s2
	global_load_ushort v60, v[60:61], off
	s_waitcnt vmcnt(0)
	v_lshlrev_b32_e32 v90, 16, v60
.LBB30_19:                              ;   in Loop: Header=BB30_7 Depth=2
	s_or_b32 exec_lo, exec_lo, s39
	global_load_ushort v91, v[2:3], off offset:12
	s_and_saveexec_b32 s39, s30
	s_cbranch_execz .LBB30_21
; %bb.20:                               ;   in Loop: Header=BB30_7 Depth=2
	v_add_co_u32 v60, s2, v78, v16
	v_add_co_ci_u32_e64 v61, null, v79, v17, s2
	global_load_ushort v60, v[60:61], off
	s_waitcnt vmcnt(0)
	v_lshlrev_b32_e32 v89, 16, v60
.LBB30_21:                              ;   in Loop: Header=BB30_7 Depth=2
	s_or_b32 exec_lo, exec_lo, s39
	global_load_ushort v92, v[2:3], off offset:14
	v_mov_b32_e32 v93, 0
	v_mov_b32_e32 v94, 0
	s_and_saveexec_b32 s39, s42
	s_cbranch_execz .LBB30_23
; %bb.22:                               ;   in Loop: Header=BB30_7 Depth=2
	v_add_co_u32 v60, s2, v78, v18
	v_add_co_ci_u32_e64 v61, null, v79, v19, s2
	global_load_ushort v60, v[60:61], off
	s_waitcnt vmcnt(0)
	v_lshlrev_b32_e32 v94, 16, v60
.LBB30_23:                              ;   in Loop: Header=BB30_7 Depth=2
	s_or_b32 exec_lo, exec_lo, s39
	global_load_ushort v95, v[2:3], off offset:16
	s_and_saveexec_b32 s39, s34
	;; [unrolled: 24-line block ×11, first 2 shown]
	s_cbranch_execz .LBB30_6
; %bb.60:                               ;   in Loop: Header=BB30_7 Depth=2
	v_add_co_u32 v78, s2, v78, v56
	v_add_co_ci_u32_e64 v79, null, v79, v57, s2
	global_load_ushort v61, v[78:79], off
	s_waitcnt vmcnt(0)
	v_lshlrev_b32_e32 v61, 16, v61
	s_branch .LBB30_6
.LBB30_61:                              ;   in Loop: Header=BB30_4 Depth=1
	v_mov_b32_e32 v76, 0
	s_branch .LBB30_3
.LBB30_62:
	s_endpgm
	.section	.rodata,"a",@progbits
	.p2align	6, 0x0
	.amdhsa_kernel _ZN2at6native12_GLOBAL__N_143conv_depthwise3d_cuda_backward_input_kernelIN3c108BFloat16EfLi3ELi3ELi3ELin1ELin1ELin1ELin1ELin1ELin1EEEvN5torch10headeronly6detail27GenericPackedTensorAccessorINS7_14TensorAccessorINS3_8ArrayRefIlEEKT_Lm4ENS6_16DefaultPtrTraitsEiEENS_6detail16IndexBoundsCheckILm5EiEESD_Lm5ESE_iEENS8_INS9_ISB_SC_Lm4ESE_iEESI_SC_Lm5ESE_iEESJ_iiiiiiiii
		.amdhsa_group_segment_fixed_size 0
		.amdhsa_private_segment_fixed_size 24
		.amdhsa_kernarg_size 440
		.amdhsa_user_sgpr_count 6
		.amdhsa_user_sgpr_private_segment_buffer 1
		.amdhsa_user_sgpr_dispatch_ptr 0
		.amdhsa_user_sgpr_queue_ptr 0
		.amdhsa_user_sgpr_kernarg_segment_ptr 1
		.amdhsa_user_sgpr_dispatch_id 0
		.amdhsa_user_sgpr_flat_scratch_init 0
		.amdhsa_user_sgpr_private_segment_size 0
		.amdhsa_wavefront_size32 1
		.amdhsa_uses_dynamic_stack 0
		.amdhsa_system_sgpr_private_segment_wavefront_offset 1
		.amdhsa_system_sgpr_workgroup_id_x 1
		.amdhsa_system_sgpr_workgroup_id_y 0
		.amdhsa_system_sgpr_workgroup_id_z 0
		.amdhsa_system_sgpr_workgroup_info 0
		.amdhsa_system_vgpr_workitem_id 0
		.amdhsa_next_free_vgpr 128
		.amdhsa_next_free_sgpr 105
		.amdhsa_reserve_vcc 1
		.amdhsa_reserve_flat_scratch 0
		.amdhsa_float_round_mode_32 0
		.amdhsa_float_round_mode_16_64 0
		.amdhsa_float_denorm_mode_32 3
		.amdhsa_float_denorm_mode_16_64 3
		.amdhsa_dx10_clamp 1
		.amdhsa_ieee_mode 1
		.amdhsa_fp16_overflow 0
		.amdhsa_workgroup_processor_mode 1
		.amdhsa_memory_ordered 1
		.amdhsa_forward_progress 1
		.amdhsa_shared_vgpr_count 0
		.amdhsa_exception_fp_ieee_invalid_op 0
		.amdhsa_exception_fp_denorm_src 0
		.amdhsa_exception_fp_ieee_div_zero 0
		.amdhsa_exception_fp_ieee_overflow 0
		.amdhsa_exception_fp_ieee_underflow 0
		.amdhsa_exception_fp_ieee_inexact 0
		.amdhsa_exception_int_div_zero 0
	.end_amdhsa_kernel
	.section	.text._ZN2at6native12_GLOBAL__N_143conv_depthwise3d_cuda_backward_input_kernelIN3c108BFloat16EfLi3ELi3ELi3ELin1ELin1ELin1ELin1ELin1ELin1EEEvN5torch10headeronly6detail27GenericPackedTensorAccessorINS7_14TensorAccessorINS3_8ArrayRefIlEEKT_Lm4ENS6_16DefaultPtrTraitsEiEENS_6detail16IndexBoundsCheckILm5EiEESD_Lm5ESE_iEENS8_INS9_ISB_SC_Lm4ESE_iEESI_SC_Lm5ESE_iEESJ_iiiiiiiii,"axG",@progbits,_ZN2at6native12_GLOBAL__N_143conv_depthwise3d_cuda_backward_input_kernelIN3c108BFloat16EfLi3ELi3ELi3ELin1ELin1ELin1ELin1ELin1ELin1EEEvN5torch10headeronly6detail27GenericPackedTensorAccessorINS7_14TensorAccessorINS3_8ArrayRefIlEEKT_Lm4ENS6_16DefaultPtrTraitsEiEENS_6detail16IndexBoundsCheckILm5EiEESD_Lm5ESE_iEENS8_INS9_ISB_SC_Lm4ESE_iEESI_SC_Lm5ESE_iEESJ_iiiiiiiii,comdat
.Lfunc_end30:
	.size	_ZN2at6native12_GLOBAL__N_143conv_depthwise3d_cuda_backward_input_kernelIN3c108BFloat16EfLi3ELi3ELi3ELin1ELin1ELin1ELin1ELin1ELin1EEEvN5torch10headeronly6detail27GenericPackedTensorAccessorINS7_14TensorAccessorINS3_8ArrayRefIlEEKT_Lm4ENS6_16DefaultPtrTraitsEiEENS_6detail16IndexBoundsCheckILm5EiEESD_Lm5ESE_iEENS8_INS9_ISB_SC_Lm4ESE_iEESI_SC_Lm5ESE_iEESJ_iiiiiiiii, .Lfunc_end30-_ZN2at6native12_GLOBAL__N_143conv_depthwise3d_cuda_backward_input_kernelIN3c108BFloat16EfLi3ELi3ELi3ELin1ELin1ELin1ELin1ELin1ELin1EEEvN5torch10headeronly6detail27GenericPackedTensorAccessorINS7_14TensorAccessorINS3_8ArrayRefIlEEKT_Lm4ENS6_16DefaultPtrTraitsEiEENS_6detail16IndexBoundsCheckILm5EiEESD_Lm5ESE_iEENS8_INS9_ISB_SC_Lm4ESE_iEESI_SC_Lm5ESE_iEESJ_iiiiiiiii
                                        ; -- End function
	.set _ZN2at6native12_GLOBAL__N_143conv_depthwise3d_cuda_backward_input_kernelIN3c108BFloat16EfLi3ELi3ELi3ELin1ELin1ELin1ELin1ELin1ELin1EEEvN5torch10headeronly6detail27GenericPackedTensorAccessorINS7_14TensorAccessorINS3_8ArrayRefIlEEKT_Lm4ENS6_16DefaultPtrTraitsEiEENS_6detail16IndexBoundsCheckILm5EiEESD_Lm5ESE_iEENS8_INS9_ISB_SC_Lm4ESE_iEESI_SC_Lm5ESE_iEESJ_iiiiiiiii.num_vgpr, 128
	.set _ZN2at6native12_GLOBAL__N_143conv_depthwise3d_cuda_backward_input_kernelIN3c108BFloat16EfLi3ELi3ELi3ELin1ELin1ELin1ELin1ELin1ELin1EEEvN5torch10headeronly6detail27GenericPackedTensorAccessorINS7_14TensorAccessorINS3_8ArrayRefIlEEKT_Lm4ENS6_16DefaultPtrTraitsEiEENS_6detail16IndexBoundsCheckILm5EiEESD_Lm5ESE_iEENS8_INS9_ISB_SC_Lm4ESE_iEESI_SC_Lm5ESE_iEESJ_iiiiiiiii.num_agpr, 0
	.set _ZN2at6native12_GLOBAL__N_143conv_depthwise3d_cuda_backward_input_kernelIN3c108BFloat16EfLi3ELi3ELi3ELin1ELin1ELin1ELin1ELin1ELin1EEEvN5torch10headeronly6detail27GenericPackedTensorAccessorINS7_14TensorAccessorINS3_8ArrayRefIlEEKT_Lm4ENS6_16DefaultPtrTraitsEiEENS_6detail16IndexBoundsCheckILm5EiEESD_Lm5ESE_iEENS8_INS9_ISB_SC_Lm4ESE_iEESI_SC_Lm5ESE_iEESJ_iiiiiiiii.numbered_sgpr, 105
	.set _ZN2at6native12_GLOBAL__N_143conv_depthwise3d_cuda_backward_input_kernelIN3c108BFloat16EfLi3ELi3ELi3ELin1ELin1ELin1ELin1ELin1ELin1EEEvN5torch10headeronly6detail27GenericPackedTensorAccessorINS7_14TensorAccessorINS3_8ArrayRefIlEEKT_Lm4ENS6_16DefaultPtrTraitsEiEENS_6detail16IndexBoundsCheckILm5EiEESD_Lm5ESE_iEENS8_INS9_ISB_SC_Lm4ESE_iEESI_SC_Lm5ESE_iEESJ_iiiiiiiii.num_named_barrier, 0
	.set _ZN2at6native12_GLOBAL__N_143conv_depthwise3d_cuda_backward_input_kernelIN3c108BFloat16EfLi3ELi3ELi3ELin1ELin1ELin1ELin1ELin1ELin1EEEvN5torch10headeronly6detail27GenericPackedTensorAccessorINS7_14TensorAccessorINS3_8ArrayRefIlEEKT_Lm4ENS6_16DefaultPtrTraitsEiEENS_6detail16IndexBoundsCheckILm5EiEESD_Lm5ESE_iEENS8_INS9_ISB_SC_Lm4ESE_iEESI_SC_Lm5ESE_iEESJ_iiiiiiiii.private_seg_size, 24
	.set _ZN2at6native12_GLOBAL__N_143conv_depthwise3d_cuda_backward_input_kernelIN3c108BFloat16EfLi3ELi3ELi3ELin1ELin1ELin1ELin1ELin1ELin1EEEvN5torch10headeronly6detail27GenericPackedTensorAccessorINS7_14TensorAccessorINS3_8ArrayRefIlEEKT_Lm4ENS6_16DefaultPtrTraitsEiEENS_6detail16IndexBoundsCheckILm5EiEESD_Lm5ESE_iEENS8_INS9_ISB_SC_Lm4ESE_iEESI_SC_Lm5ESE_iEESJ_iiiiiiiii.uses_vcc, 1
	.set _ZN2at6native12_GLOBAL__N_143conv_depthwise3d_cuda_backward_input_kernelIN3c108BFloat16EfLi3ELi3ELi3ELin1ELin1ELin1ELin1ELin1ELin1EEEvN5torch10headeronly6detail27GenericPackedTensorAccessorINS7_14TensorAccessorINS3_8ArrayRefIlEEKT_Lm4ENS6_16DefaultPtrTraitsEiEENS_6detail16IndexBoundsCheckILm5EiEESD_Lm5ESE_iEENS8_INS9_ISB_SC_Lm4ESE_iEESI_SC_Lm5ESE_iEESJ_iiiiiiiii.uses_flat_scratch, 0
	.set _ZN2at6native12_GLOBAL__N_143conv_depthwise3d_cuda_backward_input_kernelIN3c108BFloat16EfLi3ELi3ELi3ELin1ELin1ELin1ELin1ELin1ELin1EEEvN5torch10headeronly6detail27GenericPackedTensorAccessorINS7_14TensorAccessorINS3_8ArrayRefIlEEKT_Lm4ENS6_16DefaultPtrTraitsEiEENS_6detail16IndexBoundsCheckILm5EiEESD_Lm5ESE_iEENS8_INS9_ISB_SC_Lm4ESE_iEESI_SC_Lm5ESE_iEESJ_iiiiiiiii.has_dyn_sized_stack, 0
	.set _ZN2at6native12_GLOBAL__N_143conv_depthwise3d_cuda_backward_input_kernelIN3c108BFloat16EfLi3ELi3ELi3ELin1ELin1ELin1ELin1ELin1ELin1EEEvN5torch10headeronly6detail27GenericPackedTensorAccessorINS7_14TensorAccessorINS3_8ArrayRefIlEEKT_Lm4ENS6_16DefaultPtrTraitsEiEENS_6detail16IndexBoundsCheckILm5EiEESD_Lm5ESE_iEENS8_INS9_ISB_SC_Lm4ESE_iEESI_SC_Lm5ESE_iEESJ_iiiiiiiii.has_recursion, 0
	.set _ZN2at6native12_GLOBAL__N_143conv_depthwise3d_cuda_backward_input_kernelIN3c108BFloat16EfLi3ELi3ELi3ELin1ELin1ELin1ELin1ELin1ELin1EEEvN5torch10headeronly6detail27GenericPackedTensorAccessorINS7_14TensorAccessorINS3_8ArrayRefIlEEKT_Lm4ENS6_16DefaultPtrTraitsEiEENS_6detail16IndexBoundsCheckILm5EiEESD_Lm5ESE_iEENS8_INS9_ISB_SC_Lm4ESE_iEESI_SC_Lm5ESE_iEESJ_iiiiiiiii.has_indirect_call, 0
	.section	.AMDGPU.csdata,"",@progbits
; Kernel info:
; codeLenInByte = 6308
; TotalNumSgprs: 107
; NumVgprs: 128
; ScratchSize: 24
; MemoryBound: 0
; FloatMode: 240
; IeeeMode: 1
; LDSByteSize: 0 bytes/workgroup (compile time only)
; SGPRBlocks: 0
; VGPRBlocks: 15
; NumSGPRsForWavesPerEU: 107
; NumVGPRsForWavesPerEU: 128
; Occupancy: 8
; WaveLimiterHint : 0
; COMPUTE_PGM_RSRC2:SCRATCH_EN: 1
; COMPUTE_PGM_RSRC2:USER_SGPR: 6
; COMPUTE_PGM_RSRC2:TRAP_HANDLER: 0
; COMPUTE_PGM_RSRC2:TGID_X_EN: 1
; COMPUTE_PGM_RSRC2:TGID_Y_EN: 0
; COMPUTE_PGM_RSRC2:TGID_Z_EN: 0
; COMPUTE_PGM_RSRC2:TIDIG_COMP_CNT: 0
	.section	.text._ZN2at6native12_GLOBAL__N_143conv_depthwise3d_cuda_backward_input_kernelIN3c108BFloat16EfLin1ELin1ELin1ELin1ELin1ELin1ELin1ELin1ELin1EEEvN5torch10headeronly6detail27GenericPackedTensorAccessorINS7_14TensorAccessorINS3_8ArrayRefIlEEKT_Lm4ENS6_16DefaultPtrTraitsEiEENS_6detail16IndexBoundsCheckILm5EiEESD_Lm5ESE_iEENS8_INS9_ISB_SC_Lm4ESE_iEESI_SC_Lm5ESE_iEESJ_iiiiiiiii,"axG",@progbits,_ZN2at6native12_GLOBAL__N_143conv_depthwise3d_cuda_backward_input_kernelIN3c108BFloat16EfLin1ELin1ELin1ELin1ELin1ELin1ELin1ELin1ELin1EEEvN5torch10headeronly6detail27GenericPackedTensorAccessorINS7_14TensorAccessorINS3_8ArrayRefIlEEKT_Lm4ENS6_16DefaultPtrTraitsEiEENS_6detail16IndexBoundsCheckILm5EiEESD_Lm5ESE_iEENS8_INS9_ISB_SC_Lm4ESE_iEESI_SC_Lm5ESE_iEESJ_iiiiiiiii,comdat
	.globl	_ZN2at6native12_GLOBAL__N_143conv_depthwise3d_cuda_backward_input_kernelIN3c108BFloat16EfLin1ELin1ELin1ELin1ELin1ELin1ELin1ELin1ELin1EEEvN5torch10headeronly6detail27GenericPackedTensorAccessorINS7_14TensorAccessorINS3_8ArrayRefIlEEKT_Lm4ENS6_16DefaultPtrTraitsEiEENS_6detail16IndexBoundsCheckILm5EiEESD_Lm5ESE_iEENS8_INS9_ISB_SC_Lm4ESE_iEESI_SC_Lm5ESE_iEESJ_iiiiiiiii ; -- Begin function _ZN2at6native12_GLOBAL__N_143conv_depthwise3d_cuda_backward_input_kernelIN3c108BFloat16EfLin1ELin1ELin1ELin1ELin1ELin1ELin1ELin1ELin1EEEvN5torch10headeronly6detail27GenericPackedTensorAccessorINS7_14TensorAccessorINS3_8ArrayRefIlEEKT_Lm4ENS6_16DefaultPtrTraitsEiEENS_6detail16IndexBoundsCheckILm5EiEESD_Lm5ESE_iEENS8_INS9_ISB_SC_Lm4ESE_iEESI_SC_Lm5ESE_iEESJ_iiiiiiiii
	.p2align	8
	.type	_ZN2at6native12_GLOBAL__N_143conv_depthwise3d_cuda_backward_input_kernelIN3c108BFloat16EfLin1ELin1ELin1ELin1ELin1ELin1ELin1ELin1ELin1EEEvN5torch10headeronly6detail27GenericPackedTensorAccessorINS7_14TensorAccessorINS3_8ArrayRefIlEEKT_Lm4ENS6_16DefaultPtrTraitsEiEENS_6detail16IndexBoundsCheckILm5EiEESD_Lm5ESE_iEENS8_INS9_ISB_SC_Lm4ESE_iEESI_SC_Lm5ESE_iEESJ_iiiiiiiii,@function
_ZN2at6native12_GLOBAL__N_143conv_depthwise3d_cuda_backward_input_kernelIN3c108BFloat16EfLin1ELin1ELin1ELin1ELin1ELin1ELin1ELin1ELin1EEEvN5torch10headeronly6detail27GenericPackedTensorAccessorINS7_14TensorAccessorINS3_8ArrayRefIlEEKT_Lm4ENS6_16DefaultPtrTraitsEiEENS_6detail16IndexBoundsCheckILm5EiEESD_Lm5ESE_iEENS8_INS9_ISB_SC_Lm4ESE_iEESI_SC_Lm5ESE_iEESJ_iiiiiiiii: ; @_ZN2at6native12_GLOBAL__N_143conv_depthwise3d_cuda_backward_input_kernelIN3c108BFloat16EfLin1ELin1ELin1ELin1ELin1ELin1ELin1ELin1ELin1EEEvN5torch10headeronly6detail27GenericPackedTensorAccessorINS7_14TensorAccessorINS3_8ArrayRefIlEEKT_Lm4ENS6_16DefaultPtrTraitsEiEENS_6detail16IndexBoundsCheckILm5EiEESD_Lm5ESE_iEENS8_INS9_ISB_SC_Lm4ESE_iEESI_SC_Lm5ESE_iEESJ_iiiiiiiii
; %bb.0:
	s_clause 0x2
	s_load_dwordx4 s[16:19], s[4:5], 0x38
	s_load_dword s2, s[4:5], 0xc4
	s_load_dwordx2 s[34:35], s[4:5], 0x48
	s_mov_b32 s8, exec_lo
	s_waitcnt lgkmcnt(0)
	s_abs_i32 s33, s17
	s_add_u32 s0, s4, 0xb8
	v_cvt_f32_u32_e32 v1, s33
	s_addc_u32 s1, s5, 0
	s_and_b32 s2, s2, 0xffff
	v_rcp_iflag_f32_e32 v2, v1
	v_mov_b32_e32 v1, 0
	v_mad_u64_u32 v[0:1], null, s2, s6, v[0:1]
	s_mul_i32 s6, s35, s16
	s_ashr_i32 s7, s6, 31
	v_mul_f32_e32 v2, 0x4f7ffffe, v2
	v_cvt_u32_f32_e32 v2, v2
	v_readfirstlane_b32 s3, v2
	v_cmpx_gt_i64_e64 s[6:7], v[0:1]
	s_cbranch_execz .LBB31_19
; %bb.1:
	s_clause 0x1
	s_load_dwordx4 s[20:23], s[4:5], 0xc
	s_load_dwordx2 s[36:37], s[4:5], 0x0
	s_sub_i32 s28, 0, s33
	s_load_dwordx4 s[24:27], s[4:5], 0x70
	s_mul_i32 s8, s28, s3
	s_ashr_i32 s16, s17, 31
	s_mul_hi_u32 s8, s3, s8
	s_load_dword s0, s[0:1], 0x0
	s_add_i32 s3, s3, s8
	v_mul_lo_u32 v3, s28, v2
	s_clause 0x1
	s_load_dwordx2 s[38:39], s[4:5], 0x1c
	s_load_dwordx2 s[40:41], s[4:5], 0x30
	s_mov_b32 s44, 0
	v_mul_hi_u32 v3, v2, v3
	s_waitcnt lgkmcnt(0)
	s_abs_i32 s8, s20
	s_ashr_i32 s9, s20, 31
	s_mul_hi_u32 s3, s8, s3
	s_xor_b32 s29, s9, s16
	s_mul_i32 s10, s3, s33
	s_add_i32 s27, s3, 1
	s_sub_i32 s20, s8, s10
	s_load_dwordx8 s[8:15], s[4:5], 0x90
	s_sub_i32 s30, s20, s33
	s_cmp_ge_u32 s20, s33
	s_cselect_b32 s3, s27, s3
	s_cselect_b32 s20, s30, s20
	s_add_i32 s27, s3, 1
	s_cmp_ge_u32 s20, s33
	s_load_dword s20, s[4:5], 0xb0
	s_cselect_b32 s3, s27, s3
	s_load_dword s27, s[4:5], 0x7c
	s_xor_b32 s1, s3, s29
	s_sub_i32 s45, s1, s29
	s_cmp_gt_i32 s24, 0
	s_clause 0x1
	s_load_dwordx2 s[42:43], s[4:5], 0x60
	s_load_dwordx4 s[28:31], s[4:5], 0x50
	s_cselect_b32 s46, -1, 0
	s_cmp_gt_i32 s25, 0
	s_cselect_b32 s47, -1, 0
	s_cmp_gt_i32 s26, 0
	;; [unrolled: 2-line block ×3, first 2 shown]
	s_cselect_b32 s49, -1, 0
	s_abs_i32 s50, s34
	s_abs_i32 s51, s19
	v_cvt_f32_u32_e32 v4, s50
	s_abs_i32 s52, s18
	s_waitcnt lgkmcnt(0)
	s_abs_i32 s53, s8
	s_abs_i32 s54, s9
	;; [unrolled: 1-line block ×3, first 2 shown]
	v_rcp_iflag_f32_e32 v4, v4
	v_cvt_f32_u32_e32 v5, s51
	v_cvt_f32_u32_e32 v6, s52
	;; [unrolled: 1-line block ×5, first 2 shown]
	v_rcp_iflag_f32_e32 v5, v5
	v_rcp_iflag_f32_e32 v6, v6
	;; [unrolled: 1-line block ×5, first 2 shown]
	v_mul_f32_e32 v4, 0x4f7ffffe, v4
	s_sub_i32 s1, 0, s50
	s_sub_i32 s3, 0, s51
	;; [unrolled: 1-line block ×4, first 2 shown]
	v_cvt_u32_f32_e32 v4, v4
	v_mul_f32_e32 v5, 0x4f7ffffe, v5
	v_mul_f32_e32 v6, 0x4f7ffffe, v6
	;; [unrolled: 1-line block ×5, first 2 shown]
	v_mul_lo_u32 v10, s1, v4
	v_cvt_u32_f32_e32 v5, v5
	v_cvt_u32_f32_e32 v6, v6
	;; [unrolled: 1-line block ×5, first 2 shown]
	s_sub_i32 s56, 0, s54
	s_sub_i32 s57, 0, s55
	v_mul_lo_u32 v7, s3, v5
	v_mul_lo_u32 v8, s4, v6
	;; [unrolled: 1-line block ×4, first 2 shown]
	v_mul_hi_u32 v10, v4, v10
	v_mul_lo_u32 v15, s57, v13
	s_mul_i32 s56, s0, s2
	s_ashr_i32 s57, s34, 31
	v_mul_hi_u32 v7, v5, v7
	v_mul_hi_u32 v8, v6, v8
	;; [unrolled: 1-line block ×4, first 2 shown]
	v_add_nc_u32_e32 v4, v4, v10
	v_mul_hi_u32 v10, v13, v15
	s_ashr_i32 s58, s19, 31
	s_ashr_i32 s59, s18, 31
	v_add_nc_u32_e32 v5, v5, v7
	v_add_nc_u32_e32 v6, v6, v8
	v_add_nc_u32_e32 v7, v2, v3
	v_add_nc_u32_e32 v8, v11, v9
	v_add_nc_u32_e32 v9, v12, v14
	v_add_nc_u32_e32 v10, v13, v10
	v_mov_b32_e32 v11, 0x7fc0
	s_ashr_i32 s60, s8, 31
	s_ashr_i32 s61, s9, 31
	;; [unrolled: 1-line block ×3, first 2 shown]
	s_branch .LBB31_4
.LBB31_2:                               ;   in Loop: Header=BB31_4 Depth=1
	s_or_b32 exec_lo, exec_lo, s63
.LBB31_3:                               ;   in Loop: Header=BB31_4 Depth=1
	v_mul_lo_u32 v2, v15, s35
	v_mul_lo_u32 v15, s28, v16
	v_mul_lo_u32 v18, s29, v14
	v_bfe_u32 v19, v17, 16, 1
	v_mul_lo_u32 v13, s30, v13
	v_mul_lo_u32 v20, s31, v12
	v_cmp_o_f32_e32 vcc_lo, v17, v17
	v_add3_u32 v12, v17, v19, 0x7fff
	v_ashrrev_i32_e32 v3, 31, v2
	v_ashrrev_i32_e32 v16, 31, v15
	;; [unrolled: 1-line block ×5, first 2 shown]
	v_lshlrev_b64 v[2:3], 1, v[2:3]
	v_lshlrev_b64 v[15:16], 1, v[15:16]
	v_add_co_u32 v17, s0, s40, v2
	v_add_co_ci_u32_e64 v22, null, s41, v3, s0
	v_lshlrev_b64 v[2:3], 1, v[18:19]
	v_add_co_u32 v15, s0, v17, v15
	v_add_co_ci_u32_e64 v16, null, v22, v16, s0
	v_cndmask_b32_sdwa v17, v11, v12, vcc_lo dst_sel:DWORD dst_unused:UNUSED_PAD src0_sel:DWORD src1_sel:WORD_1
	v_add_co_u32 v15, vcc_lo, v15, v2
	v_add_co_ci_u32_e64 v16, null, v16, v3, vcc_lo
	v_lshlrev_b64 v[2:3], 1, v[13:14]
	v_add_co_u32 v0, vcc_lo, v0, s56
	v_lshlrev_b64 v[12:13], 1, v[20:21]
	v_add_co_ci_u32_e64 v1, null, 0, v1, vcc_lo
	v_add_co_u32 v2, vcc_lo, v15, v2
	v_add_co_ci_u32_e64 v3, null, v16, v3, vcc_lo
	v_cmp_le_i64_e32 vcc_lo, s[6:7], v[0:1]
	v_add_co_u32 v2, s0, v2, v12
	v_add_co_ci_u32_e64 v3, null, v3, v13, s0
	s_or_b32 s44, vcc_lo, s44
	global_store_short v[2:3], v17, off
	s_andn2_b32 exec_lo, exec_lo, s44
	s_cbranch_execz .LBB31_19
.LBB31_4:                               ; =>This Loop Header: Depth=1
                                        ;     Child Loop BB31_7 Depth 2
                                        ;       Child Loop BB31_10 Depth 3
                                        ;         Child Loop BB31_13 Depth 4
                                        ;           Child Loop BB31_16 Depth 5
	v_sub_nc_u32_e32 v2, 0, v0
	v_max_i32_e32 v2, v0, v2
	v_mul_hi_u32 v3, v2, v4
	v_mul_lo_u32 v12, v3, s50
	v_sub_nc_u32_e32 v2, v2, v12
	v_add_nc_u32_e32 v12, 1, v3
	v_subrev_nc_u32_e32 v13, s50, v2
	v_cmp_le_u32_e32 vcc_lo, s50, v2
	v_cndmask_b32_e32 v3, v3, v12, vcc_lo
	v_cndmask_b32_e32 v2, v2, v13, vcc_lo
	v_ashrrev_i32_e32 v12, 31, v0
	v_add_nc_u32_e32 v13, 1, v3
	v_cmp_le_u32_e32 vcc_lo, s50, v2
	v_xor_b32_e32 v12, s57, v12
	v_cndmask_b32_e32 v2, v3, v13, vcc_lo
	v_xor_b32_e32 v2, v2, v12
	v_sub_nc_u32_e32 v2, v2, v12
	v_sub_nc_u32_e32 v3, 0, v2
	v_max_i32_e32 v3, v2, v3
	v_mul_hi_u32 v12, v3, v5
	v_mul_lo_u32 v13, v12, s51
	v_sub_nc_u32_e32 v3, v3, v13
	v_add_nc_u32_e32 v13, 1, v12
	v_subrev_nc_u32_e32 v14, s51, v3
	v_cmp_le_u32_e32 vcc_lo, s51, v3
	v_cndmask_b32_e32 v12, v12, v13, vcc_lo
	v_cndmask_b32_e32 v3, v3, v14, vcc_lo
	v_ashrrev_i32_e32 v13, 31, v2
	v_add_nc_u32_e32 v14, 1, v12
	v_cmp_le_u32_e32 vcc_lo, s51, v3
	v_xor_b32_e32 v13, s58, v13
	v_cndmask_b32_e32 v3, v12, v14, vcc_lo
	v_xor_b32_e32 v3, v3, v13
	v_sub_nc_u32_e32 v3, v3, v13
	;; [unrolled: 17-line block ×3, first 2 shown]
	v_sub_nc_u32_e32 v12, 0, v16
	v_max_i32_e32 v12, v16, v12
	v_mul_hi_u32 v13, v12, v7
	v_mul_lo_u32 v14, v13, s33
	v_sub_nc_u32_e32 v12, v12, v14
	v_add_nc_u32_e32 v14, 1, v13
	v_subrev_nc_u32_e32 v15, s33, v12
	v_cmp_le_u32_e32 vcc_lo, s33, v12
	v_cndmask_b32_e32 v13, v13, v14, vcc_lo
	v_cndmask_b32_e32 v12, v12, v15, vcc_lo
	v_ashrrev_i32_e32 v14, 31, v16
	v_add_nc_u32_e32 v15, 1, v13
	v_cmp_le_u32_e32 vcc_lo, s33, v12
	v_xor_b32_e32 v14, s16, v14
	v_cndmask_b32_e32 v12, v13, v15, vcc_lo
	v_mul_lo_u32 v13, v3, s19
	s_andn2_b32 vcc_lo, exec_lo, s49
	v_xor_b32_e32 v12, v12, v14
	v_sub_nc_u32_e32 v13, v2, v13
	v_sub_nc_u32_e32 v15, v12, v14
	v_mul_lo_u32 v12, v2, s34
	v_mul_lo_u32 v14, v16, s18
	;; [unrolled: 1-line block ×3, first 2 shown]
	v_sub_nc_u32_e32 v12, v0, v12
	v_sub_nc_u32_e32 v14, v3, v14
	;; [unrolled: 1-line block ×3, first 2 shown]
	s_cbranch_vccnz .LBB31_18
; %bb.5:                                ;   in Loop: Header=BB31_4 Depth=1
	v_mul_lo_u32 v18, v16, s45
	v_mul_lo_u32 v2, s38, v15
	v_add_nc_u32_e32 v19, s13, v12
	v_add_nc_u32_e32 v20, s12, v13
	v_add_nc_u32_e32 v21, s11, v14
	v_mov_b32_e32 v17, 0
	s_mov_b32 s63, 0
	v_mul_lo_u32 v23, s27, v18
	v_ashrrev_i32_e32 v3, 31, v2
	v_add_nc_u32_e32 v22, s45, v18
	v_lshlrev_b64 v[2:3], 1, v[2:3]
	v_ashrrev_i32_e32 v24, 31, v23
	v_lshlrev_b64 v[25:26], 1, v[23:24]
	v_add_co_u32 v23, vcc_lo, s36, v2
	v_add_co_ci_u32_e64 v24, null, s37, v3, vcc_lo
	v_add_co_u32 v2, vcc_lo, s42, v25
	v_add_co_ci_u32_e64 v3, null, s43, v26, vcc_lo
	s_branch .LBB31_7
.LBB31_6:                               ;   in Loop: Header=BB31_7 Depth=2
	v_add_nc_u32_e32 v18, 1, v18
	v_cmp_ge_i32_e32 vcc_lo, v18, v22
	s_or_b32 s63, vcc_lo, s63
	s_andn2_b32 exec_lo, exec_lo, s63
	s_cbranch_execz .LBB31_2
.LBB31_7:                               ;   Parent Loop BB31_4 Depth=1
                                        ; =>  This Loop Header: Depth=2
                                        ;       Child Loop BB31_10 Depth 3
                                        ;         Child Loop BB31_13 Depth 4
                                        ;           Child Loop BB31_16 Depth 5
	s_andn2_b32 vcc_lo, exec_lo, s46
	s_cbranch_vccnz .LBB31_6
; %bb.8:                                ;   in Loop: Header=BB31_7 Depth=2
	v_mul_lo_u32 v25, s39, v18
	s_mov_b32 s64, 0
	v_ashrrev_i32_e32 v26, 31, v25
	v_lshlrev_b64 v[25:26], 1, v[25:26]
	v_add_co_u32 v25, vcc_lo, v23, v25
	v_add_co_ci_u32_e64 v26, null, v24, v26, vcc_lo
	s_branch .LBB31_10
.LBB31_9:                               ;   in Loop: Header=BB31_10 Depth=3
	s_add_i32 s64, s64, 1
	s_cmp_eq_u32 s64, s24
	s_cbranch_scc1 .LBB31_6
.LBB31_10:                              ;   Parent Loop BB31_4 Depth=1
                                        ;     Parent Loop BB31_7 Depth=2
                                        ; =>    This Loop Header: Depth=3
                                        ;         Child Loop BB31_13 Depth 4
                                        ;           Child Loop BB31_16 Depth 5
	s_andn2_b32 vcc_lo, exec_lo, s47
	s_cbranch_vccnz .LBB31_9
; %bb.11:                               ;   in Loop: Header=BB31_10 Depth=3
	s_mul_i32 s0, s14, s64
	s_mov_b32 s65, 0
	v_subrev_nc_u32_e32 v28, s0, v21
	v_sub_nc_u32_e32 v27, 0, v28
	v_max_i32_e32 v27, v28, v27
	v_mul_hi_u32 v29, v27, v8
	v_mul_lo_u32 v30, v29, s53
	v_sub_nc_u32_e32 v27, v27, v30
	v_add_nc_u32_e32 v30, 1, v29
	v_subrev_nc_u32_e32 v31, s53, v27
	v_cmp_le_u32_e32 vcc_lo, s53, v27
	v_cndmask_b32_e32 v29, v29, v30, vcc_lo
	v_cndmask_b32_e32 v27, v27, v31, vcc_lo
	v_ashrrev_i32_e32 v30, 31, v28
	v_add_nc_u32_e32 v31, 1, v29
	v_cmp_le_u32_e32 vcc_lo, s53, v27
	v_xor_b32_e32 v30, s60, v30
	v_cndmask_b32_e32 v27, v29, v31, vcc_lo
	v_xor_b32_e32 v27, v27, v30
	v_sub_nc_u32_e32 v29, v27, v30
	v_mul_lo_u32 v30, v29, s8
	v_mul_lo_u32 v27, v29, s22
	v_cmp_lt_i32_e64 s0, -1, v29
	v_cmp_gt_i32_e64 s1, s21, v29
	v_cmp_eq_u32_e64 s2, v30, v28
	s_branch .LBB31_13
.LBB31_12:                              ;   in Loop: Header=BB31_13 Depth=4
	s_add_i32 s65, s65, 1
	s_cmp_eq_u32 s65, s25
	s_cbranch_scc1 .LBB31_9
.LBB31_13:                              ;   Parent Loop BB31_4 Depth=1
                                        ;     Parent Loop BB31_7 Depth=2
                                        ;       Parent Loop BB31_10 Depth=3
                                        ; =>      This Loop Header: Depth=4
                                        ;           Child Loop BB31_16 Depth 5
	s_andn2_b32 vcc_lo, exec_lo, s48
	s_cbranch_vccnz .LBB31_12
; %bb.14:                               ;   in Loop: Header=BB31_13 Depth=4
	s_mul_i32 s3, s15, s65
	s_mov_b32 s67, s26
	v_subrev_nc_u32_e32 v29, s3, v20
	v_sub_nc_u32_e32 v28, 0, v29
	v_max_i32_e32 v28, v29, v28
	v_mul_hi_u32 v30, v28, v9
	v_mul_lo_u32 v31, v30, s54
	v_sub_nc_u32_e32 v28, v28, v31
	v_add_nc_u32_e32 v31, 1, v30
	v_subrev_nc_u32_e32 v32, s54, v28
	v_cmp_le_u32_e32 vcc_lo, s54, v28
	v_cndmask_b32_e32 v30, v30, v31, vcc_lo
	v_cndmask_b32_e32 v28, v28, v32, vcc_lo
	v_ashrrev_i32_e32 v31, 31, v29
	v_add_nc_u32_e32 v32, 1, v30
	v_cmp_le_u32_e32 vcc_lo, s54, v28
	v_xor_b32_e32 v31, s61, v31
	v_cndmask_b32_e32 v28, v30, v32, vcc_lo
	v_xor_b32_e32 v28, v28, v31
	v_sub_nc_u32_e32 v30, v28, v31
	v_mul_lo_u32 v31, v30, s9
	v_add_nc_u32_e32 v28, v30, v27
	v_cmp_gt_i32_e64 s3, s22, v30
	v_cmp_lt_i32_e32 vcc_lo, -1, v30
	v_mul_lo_u32 v28, v28, s23
	v_cmp_eq_u32_e64 s4, v31, v29
	v_mov_b32_e32 v29, v19
	s_and_b32 s66, s2, s4
	s_branch .LBB31_16
.LBB31_15:                              ;   in Loop: Header=BB31_16 Depth=5
	s_or_b32 exec_lo, exec_lo, s5
	v_mul_lo_u32 v31, v31, s10
	s_waitcnt vmcnt(0)
	v_lshlrev_b32_e32 v30, 16, v30
	v_add_co_u32 v2, s5, v2, 2
	v_add_co_ci_u32_e64 v3, null, 0, v3, s5
	v_fma_f32 v30, v32, v30, v17
	s_add_i32 s67, s67, -1
	v_cmp_eq_u32_e64 s4, v29, v31
	v_subrev_nc_u32_e32 v29, s20, v29
	s_and_b32 s4, s66, s4
	s_cmp_eq_u32 s67, 0
	v_cndmask_b32_e64 v17, v17, v30, s4
	s_cbranch_scc1 .LBB31_12
.LBB31_16:                              ;   Parent Loop BB31_4 Depth=1
                                        ;     Parent Loop BB31_7 Depth=2
                                        ;       Parent Loop BB31_10 Depth=3
                                        ;         Parent Loop BB31_13 Depth=4
                                        ; =>        This Inner Loop Header: Depth=5
	global_load_ushort v30, v[2:3], off
	v_sub_nc_u32_e32 v31, 0, v29
	v_max_i32_e32 v31, v29, v31
	v_mul_hi_u32 v32, v31, v10
	v_mul_lo_u32 v33, v32, s55
	v_sub_nc_u32_e32 v31, v31, v33
	v_add_nc_u32_e32 v33, 1, v32
	v_subrev_nc_u32_e32 v34, s55, v31
	v_cmp_le_u32_e64 s4, s55, v31
	v_cndmask_b32_e64 v32, v32, v33, s4
	v_cndmask_b32_e64 v31, v31, v34, s4
	v_ashrrev_i32_e32 v33, 31, v29
	v_add_nc_u32_e32 v34, 1, v32
	v_cmp_le_u32_e64 s4, s55, v31
	v_xor_b32_e32 v33, s62, v33
	v_cndmask_b32_e64 v31, v32, v34, s4
	v_mov_b32_e32 v32, 0
	v_xor_b32_e32 v31, v31, v33
	v_sub_nc_u32_e32 v31, v31, v33
	v_cmp_lt_i32_e64 s4, -1, v31
	v_cmp_gt_i32_e64 s5, s23, v31
	s_and_b32 s4, s4, vcc_lo
	s_and_b32 s4, s4, s0
	s_and_b32 s4, s5, s4
	;; [unrolled: 1-line block ×4, first 2 shown]
	s_and_saveexec_b32 s5, s4
	s_cbranch_execz .LBB31_15
; %bb.17:                               ;   in Loop: Header=BB31_16 Depth=5
	v_add_nc_u32_e32 v32, v31, v28
	v_ashrrev_i32_e32 v33, 31, v32
	v_lshlrev_b64 v[32:33], 1, v[32:33]
	v_add_co_u32 v32, s4, v25, v32
	v_add_co_ci_u32_e64 v33, null, v26, v33, s4
	global_load_ushort v32, v[32:33], off
	s_waitcnt vmcnt(0)
	v_lshlrev_b32_e32 v32, 16, v32
	s_branch .LBB31_15
.LBB31_18:                              ;   in Loop: Header=BB31_4 Depth=1
	v_mov_b32_e32 v17, 0
	s_branch .LBB31_3
.LBB31_19:
	s_endpgm
	.section	.rodata,"a",@progbits
	.p2align	6, 0x0
	.amdhsa_kernel _ZN2at6native12_GLOBAL__N_143conv_depthwise3d_cuda_backward_input_kernelIN3c108BFloat16EfLin1ELin1ELin1ELin1ELin1ELin1ELin1ELin1ELin1EEEvN5torch10headeronly6detail27GenericPackedTensorAccessorINS7_14TensorAccessorINS3_8ArrayRefIlEEKT_Lm4ENS6_16DefaultPtrTraitsEiEENS_6detail16IndexBoundsCheckILm5EiEESD_Lm5ESE_iEENS8_INS9_ISB_SC_Lm4ESE_iEESI_SC_Lm5ESE_iEESJ_iiiiiiiii
		.amdhsa_group_segment_fixed_size 0
		.amdhsa_private_segment_fixed_size 0
		.amdhsa_kernarg_size 440
		.amdhsa_user_sgpr_count 6
		.amdhsa_user_sgpr_private_segment_buffer 1
		.amdhsa_user_sgpr_dispatch_ptr 0
		.amdhsa_user_sgpr_queue_ptr 0
		.amdhsa_user_sgpr_kernarg_segment_ptr 1
		.amdhsa_user_sgpr_dispatch_id 0
		.amdhsa_user_sgpr_flat_scratch_init 0
		.amdhsa_user_sgpr_private_segment_size 0
		.amdhsa_wavefront_size32 1
		.amdhsa_uses_dynamic_stack 0
		.amdhsa_system_sgpr_private_segment_wavefront_offset 0
		.amdhsa_system_sgpr_workgroup_id_x 1
		.amdhsa_system_sgpr_workgroup_id_y 0
		.amdhsa_system_sgpr_workgroup_id_z 0
		.amdhsa_system_sgpr_workgroup_info 0
		.amdhsa_system_vgpr_workitem_id 0
		.amdhsa_next_free_vgpr 35
		.amdhsa_next_free_sgpr 68
		.amdhsa_reserve_vcc 1
		.amdhsa_reserve_flat_scratch 0
		.amdhsa_float_round_mode_32 0
		.amdhsa_float_round_mode_16_64 0
		.amdhsa_float_denorm_mode_32 3
		.amdhsa_float_denorm_mode_16_64 3
		.amdhsa_dx10_clamp 1
		.amdhsa_ieee_mode 1
		.amdhsa_fp16_overflow 0
		.amdhsa_workgroup_processor_mode 1
		.amdhsa_memory_ordered 1
		.amdhsa_forward_progress 1
		.amdhsa_shared_vgpr_count 0
		.amdhsa_exception_fp_ieee_invalid_op 0
		.amdhsa_exception_fp_denorm_src 0
		.amdhsa_exception_fp_ieee_div_zero 0
		.amdhsa_exception_fp_ieee_overflow 0
		.amdhsa_exception_fp_ieee_underflow 0
		.amdhsa_exception_fp_ieee_inexact 0
		.amdhsa_exception_int_div_zero 0
	.end_amdhsa_kernel
	.section	.text._ZN2at6native12_GLOBAL__N_143conv_depthwise3d_cuda_backward_input_kernelIN3c108BFloat16EfLin1ELin1ELin1ELin1ELin1ELin1ELin1ELin1ELin1EEEvN5torch10headeronly6detail27GenericPackedTensorAccessorINS7_14TensorAccessorINS3_8ArrayRefIlEEKT_Lm4ENS6_16DefaultPtrTraitsEiEENS_6detail16IndexBoundsCheckILm5EiEESD_Lm5ESE_iEENS8_INS9_ISB_SC_Lm4ESE_iEESI_SC_Lm5ESE_iEESJ_iiiiiiiii,"axG",@progbits,_ZN2at6native12_GLOBAL__N_143conv_depthwise3d_cuda_backward_input_kernelIN3c108BFloat16EfLin1ELin1ELin1ELin1ELin1ELin1ELin1ELin1ELin1EEEvN5torch10headeronly6detail27GenericPackedTensorAccessorINS7_14TensorAccessorINS3_8ArrayRefIlEEKT_Lm4ENS6_16DefaultPtrTraitsEiEENS_6detail16IndexBoundsCheckILm5EiEESD_Lm5ESE_iEENS8_INS9_ISB_SC_Lm4ESE_iEESI_SC_Lm5ESE_iEESJ_iiiiiiiii,comdat
.Lfunc_end31:
	.size	_ZN2at6native12_GLOBAL__N_143conv_depthwise3d_cuda_backward_input_kernelIN3c108BFloat16EfLin1ELin1ELin1ELin1ELin1ELin1ELin1ELin1ELin1EEEvN5torch10headeronly6detail27GenericPackedTensorAccessorINS7_14TensorAccessorINS3_8ArrayRefIlEEKT_Lm4ENS6_16DefaultPtrTraitsEiEENS_6detail16IndexBoundsCheckILm5EiEESD_Lm5ESE_iEENS8_INS9_ISB_SC_Lm4ESE_iEESI_SC_Lm5ESE_iEESJ_iiiiiiiii, .Lfunc_end31-_ZN2at6native12_GLOBAL__N_143conv_depthwise3d_cuda_backward_input_kernelIN3c108BFloat16EfLin1ELin1ELin1ELin1ELin1ELin1ELin1ELin1ELin1EEEvN5torch10headeronly6detail27GenericPackedTensorAccessorINS7_14TensorAccessorINS3_8ArrayRefIlEEKT_Lm4ENS6_16DefaultPtrTraitsEiEENS_6detail16IndexBoundsCheckILm5EiEESD_Lm5ESE_iEENS8_INS9_ISB_SC_Lm4ESE_iEESI_SC_Lm5ESE_iEESJ_iiiiiiiii
                                        ; -- End function
	.set _ZN2at6native12_GLOBAL__N_143conv_depthwise3d_cuda_backward_input_kernelIN3c108BFloat16EfLin1ELin1ELin1ELin1ELin1ELin1ELin1ELin1ELin1EEEvN5torch10headeronly6detail27GenericPackedTensorAccessorINS7_14TensorAccessorINS3_8ArrayRefIlEEKT_Lm4ENS6_16DefaultPtrTraitsEiEENS_6detail16IndexBoundsCheckILm5EiEESD_Lm5ESE_iEENS8_INS9_ISB_SC_Lm4ESE_iEESI_SC_Lm5ESE_iEESJ_iiiiiiiii.num_vgpr, 35
	.set _ZN2at6native12_GLOBAL__N_143conv_depthwise3d_cuda_backward_input_kernelIN3c108BFloat16EfLin1ELin1ELin1ELin1ELin1ELin1ELin1ELin1ELin1EEEvN5torch10headeronly6detail27GenericPackedTensorAccessorINS7_14TensorAccessorINS3_8ArrayRefIlEEKT_Lm4ENS6_16DefaultPtrTraitsEiEENS_6detail16IndexBoundsCheckILm5EiEESD_Lm5ESE_iEENS8_INS9_ISB_SC_Lm4ESE_iEESI_SC_Lm5ESE_iEESJ_iiiiiiiii.num_agpr, 0
	.set _ZN2at6native12_GLOBAL__N_143conv_depthwise3d_cuda_backward_input_kernelIN3c108BFloat16EfLin1ELin1ELin1ELin1ELin1ELin1ELin1ELin1ELin1EEEvN5torch10headeronly6detail27GenericPackedTensorAccessorINS7_14TensorAccessorINS3_8ArrayRefIlEEKT_Lm4ENS6_16DefaultPtrTraitsEiEENS_6detail16IndexBoundsCheckILm5EiEESD_Lm5ESE_iEENS8_INS9_ISB_SC_Lm4ESE_iEESI_SC_Lm5ESE_iEESJ_iiiiiiiii.numbered_sgpr, 68
	.set _ZN2at6native12_GLOBAL__N_143conv_depthwise3d_cuda_backward_input_kernelIN3c108BFloat16EfLin1ELin1ELin1ELin1ELin1ELin1ELin1ELin1ELin1EEEvN5torch10headeronly6detail27GenericPackedTensorAccessorINS7_14TensorAccessorINS3_8ArrayRefIlEEKT_Lm4ENS6_16DefaultPtrTraitsEiEENS_6detail16IndexBoundsCheckILm5EiEESD_Lm5ESE_iEENS8_INS9_ISB_SC_Lm4ESE_iEESI_SC_Lm5ESE_iEESJ_iiiiiiiii.num_named_barrier, 0
	.set _ZN2at6native12_GLOBAL__N_143conv_depthwise3d_cuda_backward_input_kernelIN3c108BFloat16EfLin1ELin1ELin1ELin1ELin1ELin1ELin1ELin1ELin1EEEvN5torch10headeronly6detail27GenericPackedTensorAccessorINS7_14TensorAccessorINS3_8ArrayRefIlEEKT_Lm4ENS6_16DefaultPtrTraitsEiEENS_6detail16IndexBoundsCheckILm5EiEESD_Lm5ESE_iEENS8_INS9_ISB_SC_Lm4ESE_iEESI_SC_Lm5ESE_iEESJ_iiiiiiiii.private_seg_size, 0
	.set _ZN2at6native12_GLOBAL__N_143conv_depthwise3d_cuda_backward_input_kernelIN3c108BFloat16EfLin1ELin1ELin1ELin1ELin1ELin1ELin1ELin1ELin1EEEvN5torch10headeronly6detail27GenericPackedTensorAccessorINS7_14TensorAccessorINS3_8ArrayRefIlEEKT_Lm4ENS6_16DefaultPtrTraitsEiEENS_6detail16IndexBoundsCheckILm5EiEESD_Lm5ESE_iEENS8_INS9_ISB_SC_Lm4ESE_iEESI_SC_Lm5ESE_iEESJ_iiiiiiiii.uses_vcc, 1
	.set _ZN2at6native12_GLOBAL__N_143conv_depthwise3d_cuda_backward_input_kernelIN3c108BFloat16EfLin1ELin1ELin1ELin1ELin1ELin1ELin1ELin1ELin1EEEvN5torch10headeronly6detail27GenericPackedTensorAccessorINS7_14TensorAccessorINS3_8ArrayRefIlEEKT_Lm4ENS6_16DefaultPtrTraitsEiEENS_6detail16IndexBoundsCheckILm5EiEESD_Lm5ESE_iEENS8_INS9_ISB_SC_Lm4ESE_iEESI_SC_Lm5ESE_iEESJ_iiiiiiiii.uses_flat_scratch, 0
	.set _ZN2at6native12_GLOBAL__N_143conv_depthwise3d_cuda_backward_input_kernelIN3c108BFloat16EfLin1ELin1ELin1ELin1ELin1ELin1ELin1ELin1ELin1EEEvN5torch10headeronly6detail27GenericPackedTensorAccessorINS7_14TensorAccessorINS3_8ArrayRefIlEEKT_Lm4ENS6_16DefaultPtrTraitsEiEENS_6detail16IndexBoundsCheckILm5EiEESD_Lm5ESE_iEENS8_INS9_ISB_SC_Lm4ESE_iEESI_SC_Lm5ESE_iEESJ_iiiiiiiii.has_dyn_sized_stack, 0
	.set _ZN2at6native12_GLOBAL__N_143conv_depthwise3d_cuda_backward_input_kernelIN3c108BFloat16EfLin1ELin1ELin1ELin1ELin1ELin1ELin1ELin1ELin1EEEvN5torch10headeronly6detail27GenericPackedTensorAccessorINS7_14TensorAccessorINS3_8ArrayRefIlEEKT_Lm4ENS6_16DefaultPtrTraitsEiEENS_6detail16IndexBoundsCheckILm5EiEESD_Lm5ESE_iEENS8_INS9_ISB_SC_Lm4ESE_iEESI_SC_Lm5ESE_iEESJ_iiiiiiiii.has_recursion, 0
	.set _ZN2at6native12_GLOBAL__N_143conv_depthwise3d_cuda_backward_input_kernelIN3c108BFloat16EfLin1ELin1ELin1ELin1ELin1ELin1ELin1ELin1ELin1EEEvN5torch10headeronly6detail27GenericPackedTensorAccessorINS7_14TensorAccessorINS3_8ArrayRefIlEEKT_Lm4ENS6_16DefaultPtrTraitsEiEENS_6detail16IndexBoundsCheckILm5EiEESD_Lm5ESE_iEENS8_INS9_ISB_SC_Lm4ESE_iEESI_SC_Lm5ESE_iEESJ_iiiiiiiii.has_indirect_call, 0
	.section	.AMDGPU.csdata,"",@progbits
; Kernel info:
; codeLenInByte = 2096
; TotalNumSgprs: 70
; NumVgprs: 35
; ScratchSize: 0
; MemoryBound: 0
; FloatMode: 240
; IeeeMode: 1
; LDSByteSize: 0 bytes/workgroup (compile time only)
; SGPRBlocks: 0
; VGPRBlocks: 4
; NumSGPRsForWavesPerEU: 70
; NumVGPRsForWavesPerEU: 35
; Occupancy: 16
; WaveLimiterHint : 0
; COMPUTE_PGM_RSRC2:SCRATCH_EN: 0
; COMPUTE_PGM_RSRC2:USER_SGPR: 6
; COMPUTE_PGM_RSRC2:TRAP_HANDLER: 0
; COMPUTE_PGM_RSRC2:TGID_X_EN: 1
; COMPUTE_PGM_RSRC2:TGID_Y_EN: 0
; COMPUTE_PGM_RSRC2:TGID_Z_EN: 0
; COMPUTE_PGM_RSRC2:TIDIG_COMP_CNT: 0
	.section	.text._ZN2at6native12_GLOBAL__N_144conv_depthwise3d_cuda_backward_weight_kernelIddLi1ELi1EEEvN5torch10headeronly6detail27GenericPackedTensorAccessorINS5_14TensorAccessorIN3c108ArrayRefIlEEKT_Lm4ENS4_16DefaultPtrTraitsEiEENS_6detail16IndexBoundsCheckILm5EiEESC_Lm5ESD_iEESI_NS6_INS7_ISA_SB_Lm4ESD_iEESH_SB_Lm5ESD_iEEiiiiiiiii,"axG",@progbits,_ZN2at6native12_GLOBAL__N_144conv_depthwise3d_cuda_backward_weight_kernelIddLi1ELi1EEEvN5torch10headeronly6detail27GenericPackedTensorAccessorINS5_14TensorAccessorIN3c108ArrayRefIlEEKT_Lm4ENS4_16DefaultPtrTraitsEiEENS_6detail16IndexBoundsCheckILm5EiEESC_Lm5ESD_iEESI_NS6_INS7_ISA_SB_Lm4ESD_iEESH_SB_Lm5ESD_iEEiiiiiiiii,comdat
	.globl	_ZN2at6native12_GLOBAL__N_144conv_depthwise3d_cuda_backward_weight_kernelIddLi1ELi1EEEvN5torch10headeronly6detail27GenericPackedTensorAccessorINS5_14TensorAccessorIN3c108ArrayRefIlEEKT_Lm4ENS4_16DefaultPtrTraitsEiEENS_6detail16IndexBoundsCheckILm5EiEESC_Lm5ESD_iEESI_NS6_INS7_ISA_SB_Lm4ESD_iEESH_SB_Lm5ESD_iEEiiiiiiiii ; -- Begin function _ZN2at6native12_GLOBAL__N_144conv_depthwise3d_cuda_backward_weight_kernelIddLi1ELi1EEEvN5torch10headeronly6detail27GenericPackedTensorAccessorINS5_14TensorAccessorIN3c108ArrayRefIlEEKT_Lm4ENS4_16DefaultPtrTraitsEiEENS_6detail16IndexBoundsCheckILm5EiEESC_Lm5ESD_iEESI_NS6_INS7_ISA_SB_Lm4ESD_iEESH_SB_Lm5ESD_iEEiiiiiiiii
	.p2align	8
	.type	_ZN2at6native12_GLOBAL__N_144conv_depthwise3d_cuda_backward_weight_kernelIddLi1ELi1EEEvN5torch10headeronly6detail27GenericPackedTensorAccessorINS5_14TensorAccessorIN3c108ArrayRefIlEEKT_Lm4ENS4_16DefaultPtrTraitsEiEENS_6detail16IndexBoundsCheckILm5EiEESC_Lm5ESD_iEESI_NS6_INS7_ISA_SB_Lm4ESD_iEESH_SB_Lm5ESD_iEEiiiiiiiii,@function
_ZN2at6native12_GLOBAL__N_144conv_depthwise3d_cuda_backward_weight_kernelIddLi1ELi1EEEvN5torch10headeronly6detail27GenericPackedTensorAccessorINS5_14TensorAccessorIN3c108ArrayRefIlEEKT_Lm4ENS4_16DefaultPtrTraitsEiEENS_6detail16IndexBoundsCheckILm5EiEESC_Lm5ESD_iEESI_NS6_INS7_ISA_SB_Lm4ESD_iEESH_SB_Lm5ESD_iEEiiiiiiiii: ; @_ZN2at6native12_GLOBAL__N_144conv_depthwise3d_cuda_backward_weight_kernelIddLi1ELi1EEEvN5torch10headeronly6detail27GenericPackedTensorAccessorINS5_14TensorAccessorIN3c108ArrayRefIlEEKT_Lm4ENS4_16DefaultPtrTraitsEiEENS_6detail16IndexBoundsCheckILm5EiEESC_Lm5ESD_iEESI_NS6_INS7_ISA_SB_Lm4ESD_iEESH_SB_Lm5ESD_iEEiiiiiiiii
; %bb.0:
	s_load_dwordx4 s[0:3], s[4:5], 0x70
	s_add_u32 s8, s4, 0x60
	s_addc_u32 s9, s5, 0
	s_waitcnt lgkmcnt(0)
	v_cvt_f32_u32_e32 v1, s2
	v_cvt_f32_u32_e32 v2, s1
	s_sub_i32 s10, 0, s2
	v_rcp_iflag_f32_e32 v1, v1
	v_rcp_iflag_f32_e32 v2, v2
	v_mul_f32_e32 v1, 0x4f7ffffe, v1
	v_mul_f32_e32 v2, 0x4f7ffffe, v2
	v_cvt_u32_f32_e32 v1, v1
	v_cvt_u32_f32_e32 v2, v2
	v_readfirstlane_b32 s7, v1
	v_cvt_f32_u32_e32 v1, s0
	v_readfirstlane_b32 s13, v2
	s_mul_i32 s10, s10, s7
	v_rcp_iflag_f32_e32 v1, v1
	s_mul_hi_u32 s10, s7, s10
	s_add_i32 s7, s7, s10
	s_mul_hi_u32 s7, s6, s7
	s_mul_i32 s10, s7, s2
	s_add_i32 s11, s7, 1
	s_sub_i32 s10, s6, s10
	v_mul_f32_e32 v1, 0x4f7ffffe, v1
	s_sub_i32 s12, s10, s2
	s_cmp_ge_u32 s10, s2
	s_cselect_b32 s7, s11, s7
	s_cselect_b32 s10, s12, s10
	s_add_i32 s11, s7, 1
	s_cmp_ge_u32 s10, s2
	v_cvt_u32_f32_e32 v1, v1
	s_cselect_b32 s20, s11, s7
	s_sub_i32 s7, 0, s1
	s_mul_i32 s7, s7, s13
	v_readfirstlane_b32 s16, v1
	s_mul_hi_u32 s7, s13, s7
	s_add_i32 s13, s13, s7
	s_mul_hi_u32 s7, s20, s13
	s_mul_i32 s10, s7, s1
	s_add_i32 s11, s7, 1
	s_sub_i32 s10, s20, s10
	s_sub_i32 s12, s10, s1
	s_cmp_ge_u32 s10, s1
	s_cselect_b32 s7, s11, s7
	s_cselect_b32 s10, s12, s10
	s_add_i32 s11, s7, 1
	s_cmp_ge_u32 s10, s1
	s_load_dwordx4 s[12:15], s[4:5], 0x3c
	s_cselect_b32 s21, s11, s7
	s_sub_i32 s7, 0, s0
	s_mul_i32 s7, s7, s16
	s_mul_hi_u32 s7, s16, s7
	s_add_i32 s16, s16, s7
	s_mul_hi_u32 s7, s21, s16
	s_mul_i32 s10, s7, s0
	s_add_i32 s11, s7, 1
	s_sub_i32 s10, s21, s10
	s_sub_i32 s16, s10, s0
	s_cmp_ge_u32 s10, s0
	s_cselect_b32 s7, s11, s7
	s_cselect_b32 s10, s16, s10
	s_add_i32 s11, s7, 1
	s_cmp_ge_u32 s10, s0
	s_load_dwordx4 s[16:19], s[4:5], 0xc
	s_cselect_b32 s7, s11, s7
	s_waitcnt lgkmcnt(0)
	s_abs_i32 s10, s12
	v_cvt_f32_u32_e32 v1, s10
	s_sub_i32 s22, 0, s10
	v_rcp_iflag_f32_e32 v1, v1
	v_mul_f32_e32 v1, 0x4f7ffffe, v1
	s_abs_i32 s23, s16
	s_xor_b32 s12, s16, s12
	s_ashr_i32 s12, s12, 31
	v_cvt_u32_f32_e32 v1, v1
	v_readfirstlane_b32 s11, v1
	s_mul_i32 s22, s22, s11
	s_mul_hi_u32 s22, s11, s22
	s_add_i32 s11, s11, s22
	s_mul_hi_u32 s11, s23, s11
	s_mul_i32 s16, s11, s10
	s_add_i32 s22, s11, 1
	s_sub_i32 s16, s23, s16
	s_sub_i32 s23, s16, s10
	s_cmp_ge_u32 s16, s10
	s_cselect_b32 s11, s22, s11
	s_cselect_b32 s16, s23, s16
	s_add_i32 s22, s11, 1
	s_cmp_ge_u32 s16, s10
	s_cselect_b32 s10, s22, s11
	s_xor_b32 s10, s10, s12
	s_sub_i32 s22, s10, s12
	s_load_dword s10, s[4:5], 0x68
	s_abs_i32 s39, s22
	v_cvt_f32_u32_e32 v1, s39
	v_rcp_iflag_f32_e32 v1, v1
	v_mul_f32_e32 v1, 0x4f7ffffe, v1
	s_waitcnt lgkmcnt(0)
	s_cmp_ge_i32 s7, s10
	v_cvt_u32_f32_e32 v1, v1
	v_readfirstlane_b32 s23, v1
	s_cbranch_scc1 .LBB32_28
; %bb.1:
	s_clause 0x1
	s_load_dword s36, s[4:5], 0x38
	s_load_dword s24, s[4:5], 0xc4
	s_clause 0x1
	s_load_dwordx2 s[34:35], s[8:9], 0x0
	s_load_dwordx4 s[8:11], s[8:9], 0x24
	v_mov_b32_e32 v1, 0
	v_lshrrev_b32_e32 v10, 5, v0
	v_mov_b32_e32 v2, 0
	s_mul_i32 s2, s20, s2
	s_mul_i32 s1, s21, s1
	;; [unrolled: 1-line block ×3, first 2 shown]
	s_sub_i32 s6, s6, s2
	s_sub_i32 s12, s20, s1
	;; [unrolled: 1-line block ×3, first 2 shown]
	s_mov_b32 s37, exec_lo
	s_waitcnt lgkmcnt(0)
	s_mul_i32 s36, s36, s17
	s_and_b32 s33, s24, 0xffff
	v_cmpx_gt_i32_e64 s36, v10
	s_cbranch_execz .LBB32_23
; %bb.2:
	s_sub_i32 s0, 0, s39
	s_abs_i32 s25, s7
	s_mul_i32 s0, s0, s23
	s_ashr_i32 s24, s22, 31
	s_mul_hi_u32 s0, s23, s0
	s_ashr_i32 s2, s7, 31
	s_add_i32 s23, s23, s0
	s_xor_b32 s2, s2, s24
	s_mul_hi_u32 s40, s25, s23
	s_clause 0x2
	s_load_dwordx4 s[28:31], s[4:5], 0x9c
	s_load_dwordx2 s[0:1], s[4:5], 0x0
	s_load_dwordx4 s[20:23], s[4:5], 0x1c
	s_waitcnt lgkmcnt(0)
	s_mul_i32 s23, s40, s39
	s_lshr_b32 s38, s33, 5
	s_sub_i32 s23, s25, s23
	s_load_dwordx4 s[24:27], s[4:5], 0x4c
	s_add_i32 s41, s40, 1
	s_sub_i32 s42, s23, s39
	s_cmp_ge_u32 s23, s39
	v_mov_b32_e32 v13, 0
	s_waitcnt lgkmcnt(0)
	s_cselect_b32 s27, s41, s40
	s_load_dwordx2 s[40:41], s[4:5], 0x30
	s_cselect_b32 s23, s42, s23
	s_add_i32 s42, s27, 1
	s_cmp_ge_u32 s23, s39
	s_cselect_b32 s23, s42, s27
	s_load_dwordx2 s[42:43], s[4:5], 0xac
	s_xor_b32 s23, s23, s2
	s_abs_i32 s39, s17
	s_sub_i32 s2, s23, s2
	s_mul_i32 s4, s21, s7
	s_mul_i32 s21, s16, s31
	s_ashr_i32 s5, s4, 31
	s_ashr_i32 s27, s17, 31
	s_lshl_b64 s[44:45], s[4:5], 3
	s_sub_i32 s46, 0, s39
	s_sub_i32 s4, s21, s28
	v_cvt_f32_u32_e32 v1, s39
	s_add_u32 s5, s0, s44
	s_mul_i32 s0, s25, s2
	s_addc_u32 s21, s1, s45
	s_ashr_i32 s1, s0, 31
	v_rcp_iflag_f32_e32 v1, v1
	s_lshl_b64 s[0:1], s[0:1], 3
	s_waitcnt lgkmcnt(0)
	s_add_u32 s23, s40, s0
	s_addc_u32 s25, s41, s1
	s_abs_i32 s1, s19
	v_cvt_f32_u32_e32 v2, s1
	s_sub_i32 s0, 0, s1
	v_mul_f32_e32 v1, 0x4f7ffffe, v1
	v_rcp_iflag_f32_e32 v2, v2
	v_cvt_u32_f32_e32 v1, v1
	v_mul_lo_u32 v3, s46, v1
	v_mul_f32_e32 v2, 0x4f7ffffe, v2
	v_cvt_u32_f32_e32 v2, v2
	v_mul_hi_u32 v3, v1, v3
	v_mul_lo_u32 v4, s0, v2
	v_add_nc_u32_e32 v1, v1, v3
	v_and_b32_e32 v3, 31, v0
	v_mul_hi_u32 v4, v2, v4
	v_mul_hi_u32 v1, v10, v1
	v_lshlrev_b32_e32 v16, 3, v3
	v_add_nc_u32_e32 v2, v2, v4
	v_mul_lo_u32 v4, v1, s39
	v_add_nc_u32_e32 v6, 1, v1
	v_mul_hi_u32 v2, v3, v2
	v_sub_nc_u32_e32 v4, v10, v4
	v_mul_lo_u32 v5, v2, s1
	v_cmp_le_u32_e32 vcc_lo, s39, v4
	v_add_nc_u32_e32 v7, 1, v2
	v_cndmask_b32_e32 v1, v1, v6, vcc_lo
	v_subrev_nc_u32_e32 v6, s39, v4
	v_sub_nc_u32_e32 v5, v3, v5
	v_cndmask_b32_e32 v4, v4, v6, vcc_lo
	v_subrev_nc_u32_e32 v8, s1, v5
	v_cmp_le_u32_e64 s0, s1, v5
	v_add_nc_u32_e32 v6, 1, v1
	v_cmp_le_u32_e32 vcc_lo, s39, v4
	v_cndmask_b32_e64 v2, v2, v7, s0
	v_cndmask_b32_e64 v5, v5, v8, s0
	s_ashr_i32 s0, s19, 31
	v_cndmask_b32_e32 v1, v1, v6, vcc_lo
	v_add_nc_u32_e32 v7, 1, v2
	v_cmp_le_u32_e32 vcc_lo, s1, v5
	s_mul_i32 s1, s12, s42
	v_xor_b32_e32 v1, s27, v1
	s_sub_i32 s29, s1, s29
	v_cndmask_b32_e32 v2, v2, v7, vcc_lo
	v_subrev_nc_u32_e32 v11, s27, v1
	s_mov_b32 s27, 0
	v_xor_b32_e32 v2, s0, v2
	v_mul_lo_u32 v4, v11, s17
	v_subrev_nc_u32_e32 v12, s0, v2
	v_mov_b32_e32 v1, 0
	v_mov_b32_e32 v2, 0
	s_mul_i32 s0, s6, s43
	v_mul_lo_u32 v5, v12, s19
	v_sub_nc_u32_e32 v14, v10, v4
	s_sub_i32 s28, s0, s30
	v_cmp_gt_i32_e32 vcc_lo, s18, v12
	v_sub_nc_u32_e32 v15, v3, v5
	s_branch .LBB32_6
.LBB32_3:                               ;   in Loop: Header=BB32_6 Depth=1
	s_or_b32 exec_lo, exec_lo, s39
.LBB32_4:                               ;   in Loop: Header=BB32_6 Depth=1
	s_or_b32 exec_lo, exec_lo, s31
.LBB32_5:                               ;   in Loop: Header=BB32_6 Depth=1
	s_or_b32 exec_lo, exec_lo, s30
	v_add_nc_u32_e32 v10, s38, v10
	v_add_nc_u32_e32 v14, s38, v14
	v_cmp_le_i32_e64 s0, s36, v10
	s_or_b32 s27, s0, s27
	s_andn2_b32 exec_lo, exec_lo, s27
	s_cbranch_execz .LBB32_22
.LBB32_6:                               ; =>This Loop Header: Depth=1
                                        ;     Child Loop BB32_8 Depth 2
                                        ;     Child Loop BB32_14 Depth 2
                                        ;       Child Loop BB32_20 Depth 3
	s_mov_b32 s1, exec_lo
	v_cmpx_le_i32_e64 s17, v14
	s_cbranch_execz .LBB32_10
; %bb.7:                                ;   in Loop: Header=BB32_6 Depth=1
	s_mov_b32 s2, 0
.LBB32_8:                               ;   Parent Loop BB32_6 Depth=1
                                        ; =>  This Inner Loop Header: Depth=2
	v_subrev_nc_u32_e32 v14, s17, v14
	v_add_nc_u32_e32 v11, 1, v11
	v_cmp_gt_i32_e64 s0, s17, v14
	s_or_b32 s2, s0, s2
	s_andn2_b32 exec_lo, exec_lo, s2
	s_cbranch_execnz .LBB32_8
; %bb.9:                                ;   in Loop: Header=BB32_6 Depth=1
	s_or_b32 exec_lo, exec_lo, s2
.LBB32_10:                              ;   in Loop: Header=BB32_6 Depth=1
	s_or_b32 exec_lo, exec_lo, s1
	v_mad_u64_u32 v[3:4], null, v14, s11, s[4:5]
	v_cmp_lt_i32_e64 s0, -1, v3
	v_cmp_gt_i32_e64 s1, s13, v3
	s_and_b32 s0, s0, s1
	s_and_saveexec_b32 s30, s0
	s_cbranch_execz .LBB32_5
; %bb.11:                               ;   in Loop: Header=BB32_6 Depth=1
	s_and_saveexec_b32 s31, vcc_lo
	s_cbranch_execz .LBB32_4
; %bb.12:                               ;   in Loop: Header=BB32_6 Depth=1
	v_mul_lo_u32 v4, s20, v11
	v_mul_lo_u32 v6, s24, v11
	;; [unrolled: 1-line block ×4, first 2 shown]
	v_mov_b32_e32 v19, v15
	v_mov_b32_e32 v20, v12
	s_mov_b32 s39, 0
	v_ashrrev_i32_e32 v5, 31, v4
	v_ashrrev_i32_e32 v7, 31, v6
	;; [unrolled: 1-line block ×4, first 2 shown]
	v_lshlrev_b64 v[3:4], 3, v[4:5]
	v_lshlrev_b64 v[5:6], 3, v[6:7]
	;; [unrolled: 1-line block ×4, first 2 shown]
	v_add_co_u32 v3, s0, s5, v3
	v_add_co_ci_u32_e64 v4, null, s21, v4, s0
	v_add_co_u32 v5, s0, s23, v5
	v_add_co_ci_u32_e64 v6, null, s25, v6, s0
	v_add_co_u32 v3, s0, v3, v17
	v_add_co_ci_u32_e64 v4, null, v4, v18, s0
	v_add_co_u32 v17, s0, v5, v7
	v_add_co_ci_u32_e64 v18, null, v6, v8, s0
	v_add_co_u32 v3, s0, v3, v16
	v_add_co_ci_u32_e64 v4, null, 0, v4, s0
	s_branch .LBB32_14
.LBB32_13:                              ;   in Loop: Header=BB32_14 Depth=2
	s_or_b32 exec_lo, exec_lo, s1
	s_waitcnt vmcnt(0)
	v_fma_f64 v[1:2], v[5:6], v[7:8], v[1:2]
	v_cmp_le_i32_e64 s0, s18, v20
	v_add_co_u32 v3, s1, 0x100, v3
	v_add_co_ci_u32_e64 v4, null, 0, v4, s1
	s_or_b32 s39, s0, s39
	s_andn2_b32 exec_lo, exec_lo, s39
	s_cbranch_execz .LBB32_3
.LBB32_14:                              ;   Parent Loop BB32_6 Depth=1
                                        ; =>  This Loop Header: Depth=2
                                        ;       Child Loop BB32_20 Depth 3
	global_load_dwordx2 v[5:6], v[3:4], off
	v_mov_b32_e32 v7, 0
	v_add_nc_u32_e32 v9, s28, v19
	v_mov_b32_e32 v8, 0
	s_mov_b32 s40, exec_lo
	v_cmpx_lt_i32_e32 -1, v9
	s_cbranch_execz .LBB32_18
; %bb.15:                               ;   in Loop: Header=BB32_14 Depth=2
	v_add_nc_u32_e32 v21, s29, v20
	v_cmp_gt_i32_e64 s0, s15, v9
	v_mov_b32_e32 v7, 0
	v_mov_b32_e32 v8, 0
	v_cmp_gt_i32_e64 s1, s14, v21
	v_cmp_lt_i32_e64 s2, -1, v21
	s_and_b32 s0, s0, s1
	s_and_b32 s0, s0, s2
	s_and_saveexec_b32 s1, s0
	s_cbranch_execz .LBB32_17
; %bb.16:                               ;   in Loop: Header=BB32_14 Depth=2
	v_mad_u64_u32 v[7:8], null, v21, s15, v[9:10]
	v_mov_b32_e32 v8, v13
	v_lshlrev_b64 v[7:8], 3, v[7:8]
	v_add_co_u32 v7, s0, v17, v7
	v_add_co_ci_u32_e64 v8, null, v18, v8, s0
	global_load_dwordx2 v[7:8], v[7:8], off
.LBB32_17:                              ;   in Loop: Header=BB32_14 Depth=2
	s_or_b32 exec_lo, exec_lo, s1
.LBB32_18:                              ;   in Loop: Header=BB32_14 Depth=2
	s_or_b32 exec_lo, exec_lo, s40
	v_add_nc_u32_e32 v19, 32, v19
	s_mov_b32 s1, exec_lo
	v_cmpx_le_i32_e64 s19, v19
	s_cbranch_execz .LBB32_13
; %bb.19:                               ;   in Loop: Header=BB32_14 Depth=2
	s_mov_b32 s2, 0
.LBB32_20:                              ;   Parent Loop BB32_6 Depth=1
                                        ;     Parent Loop BB32_14 Depth=2
                                        ; =>    This Inner Loop Header: Depth=3
	v_subrev_nc_u32_e32 v19, s19, v19
	v_add_nc_u32_e32 v20, 1, v20
	v_cmp_gt_i32_e64 s0, s19, v19
	s_or_b32 s2, s0, s2
	s_andn2_b32 exec_lo, exec_lo, s2
	s_cbranch_execnz .LBB32_20
; %bb.21:                               ;   in Loop: Header=BB32_14 Depth=2
	s_or_b32 exec_lo, exec_lo, s2
	s_branch .LBB32_13
.LBB32_22:
	s_or_b32 exec_lo, exec_lo, s27
.LBB32_23:
	s_or_b32 exec_lo, exec_lo, s37
	v_lshl_add_u32 v3, v0, 3, 0
	s_bcnt1_i32_b32 s0, s33
	s_cmp_lg_u32 s0, 1
	s_mov_b32 s0, -1
	ds_write_b64 v3, v[1:2]
	s_waitcnt lgkmcnt(0)
	s_barrier
	buffer_gl0_inv
	s_cbranch_scc1 .LBB32_32
; %bb.24:
	s_andn2_b32 vcc_lo, exec_lo, s0
	s_cbranch_vccnz .LBB32_28
.LBB32_25:
	s_cmp_lt_u32 s33, 2
	s_cbranch_scc0 .LBB32_30
.LBB32_26:
	s_mov_b32 s0, exec_lo
	v_cmpx_eq_u32_e32 0, v0
	s_cbranch_execz .LBB32_28
; %bb.27:
	s_mul_i32 s0, s3, s7
	v_mov_b32_e32 v2, 0
	s_ashr_i32 s1, s0, 31
	s_mul_i32 s2, s8, s16
	s_lshl_b64 s[0:1], s[0:1], 3
	ds_read_b64 v[0:1], v2
	s_add_u32 s4, s34, s0
	s_addc_u32 s5, s35, s1
	s_ashr_i32 s3, s2, 31
	s_lshl_b64 s[0:1], s[2:3], 3
	s_mul_i32 s2, s9, s12
	s_add_u32 s4, s4, s0
	s_addc_u32 s5, s5, s1
	s_ashr_i32 s3, s2, 31
	s_lshl_b64 s[0:1], s[2:3], 3
	s_add_u32 s2, s4, s0
	s_mul_i32 s0, s10, s6
	s_addc_u32 s3, s5, s1
	s_ashr_i32 s1, s0, 31
	s_lshl_b64 s[0:1], s[0:1], 3
	s_add_u32 s0, s2, s0
	s_addc_u32 s1, s3, s1
	s_waitcnt lgkmcnt(0)
	global_store_dwordx2 v2, v[0:1], s[0:1]
.LBB32_28:
	s_endpgm
	.p2align	6
.LBB32_29:                              ;   in Loop: Header=BB32_30 Depth=1
	s_or_b32 exec_lo, exec_lo, s1
	s_cmp_lt_u32 s33, 4
	s_mov_b32 s33, s0
	s_waitcnt lgkmcnt(0)
	s_barrier
	buffer_gl0_inv
	s_cbranch_scc1 .LBB32_26
.LBB32_30:                              ; =>This Inner Loop Header: Depth=1
	s_lshr_b32 s0, s33, 1
	s_mov_b32 s1, exec_lo
	v_cmpx_gt_u32_e64 s0, v0
	s_cbranch_execz .LBB32_29
; %bb.31:                               ;   in Loop: Header=BB32_30 Depth=1
	v_lshl_add_u32 v1, s0, 3, v3
	ds_read_b64 v[1:2], v1
	ds_read_b64 v[4:5], v3
	s_waitcnt lgkmcnt(0)
	v_add_f64 v[1:2], v[1:2], v[4:5]
	ds_write_b64 v3, v[1:2]
	s_branch .LBB32_29
.LBB32_32:
	s_trap 2
	; divergent unreachable
	s_cbranch_execz .LBB32_25
	s_branch .LBB32_28
	.section	.rodata,"a",@progbits
	.p2align	6, 0x0
	.amdhsa_kernel _ZN2at6native12_GLOBAL__N_144conv_depthwise3d_cuda_backward_weight_kernelIddLi1ELi1EEEvN5torch10headeronly6detail27GenericPackedTensorAccessorINS5_14TensorAccessorIN3c108ArrayRefIlEEKT_Lm4ENS4_16DefaultPtrTraitsEiEENS_6detail16IndexBoundsCheckILm5EiEESC_Lm5ESD_iEESI_NS6_INS7_ISA_SB_Lm4ESD_iEESH_SB_Lm5ESD_iEEiiiiiiiii
		.amdhsa_group_segment_fixed_size 0
		.amdhsa_private_segment_fixed_size 0
		.amdhsa_kernarg_size 440
		.amdhsa_user_sgpr_count 6
		.amdhsa_user_sgpr_private_segment_buffer 1
		.amdhsa_user_sgpr_dispatch_ptr 0
		.amdhsa_user_sgpr_queue_ptr 0
		.amdhsa_user_sgpr_kernarg_segment_ptr 1
		.amdhsa_user_sgpr_dispatch_id 0
		.amdhsa_user_sgpr_flat_scratch_init 0
		.amdhsa_user_sgpr_private_segment_size 0
		.amdhsa_wavefront_size32 1
		.amdhsa_uses_dynamic_stack 0
		.amdhsa_system_sgpr_private_segment_wavefront_offset 0
		.amdhsa_system_sgpr_workgroup_id_x 1
		.amdhsa_system_sgpr_workgroup_id_y 0
		.amdhsa_system_sgpr_workgroup_id_z 0
		.amdhsa_system_sgpr_workgroup_info 0
		.amdhsa_system_vgpr_workitem_id 0
		.amdhsa_next_free_vgpr 22
		.amdhsa_next_free_sgpr 47
		.amdhsa_reserve_vcc 1
		.amdhsa_reserve_flat_scratch 0
		.amdhsa_float_round_mode_32 0
		.amdhsa_float_round_mode_16_64 0
		.amdhsa_float_denorm_mode_32 3
		.amdhsa_float_denorm_mode_16_64 3
		.amdhsa_dx10_clamp 1
		.amdhsa_ieee_mode 1
		.amdhsa_fp16_overflow 0
		.amdhsa_workgroup_processor_mode 1
		.amdhsa_memory_ordered 1
		.amdhsa_forward_progress 1
		.amdhsa_shared_vgpr_count 0
		.amdhsa_exception_fp_ieee_invalid_op 0
		.amdhsa_exception_fp_denorm_src 0
		.amdhsa_exception_fp_ieee_div_zero 0
		.amdhsa_exception_fp_ieee_overflow 0
		.amdhsa_exception_fp_ieee_underflow 0
		.amdhsa_exception_fp_ieee_inexact 0
		.amdhsa_exception_int_div_zero 0
	.end_amdhsa_kernel
	.section	.text._ZN2at6native12_GLOBAL__N_144conv_depthwise3d_cuda_backward_weight_kernelIddLi1ELi1EEEvN5torch10headeronly6detail27GenericPackedTensorAccessorINS5_14TensorAccessorIN3c108ArrayRefIlEEKT_Lm4ENS4_16DefaultPtrTraitsEiEENS_6detail16IndexBoundsCheckILm5EiEESC_Lm5ESD_iEESI_NS6_INS7_ISA_SB_Lm4ESD_iEESH_SB_Lm5ESD_iEEiiiiiiiii,"axG",@progbits,_ZN2at6native12_GLOBAL__N_144conv_depthwise3d_cuda_backward_weight_kernelIddLi1ELi1EEEvN5torch10headeronly6detail27GenericPackedTensorAccessorINS5_14TensorAccessorIN3c108ArrayRefIlEEKT_Lm4ENS4_16DefaultPtrTraitsEiEENS_6detail16IndexBoundsCheckILm5EiEESC_Lm5ESD_iEESI_NS6_INS7_ISA_SB_Lm4ESD_iEESH_SB_Lm5ESD_iEEiiiiiiiii,comdat
.Lfunc_end32:
	.size	_ZN2at6native12_GLOBAL__N_144conv_depthwise3d_cuda_backward_weight_kernelIddLi1ELi1EEEvN5torch10headeronly6detail27GenericPackedTensorAccessorINS5_14TensorAccessorIN3c108ArrayRefIlEEKT_Lm4ENS4_16DefaultPtrTraitsEiEENS_6detail16IndexBoundsCheckILm5EiEESC_Lm5ESD_iEESI_NS6_INS7_ISA_SB_Lm4ESD_iEESH_SB_Lm5ESD_iEEiiiiiiiii, .Lfunc_end32-_ZN2at6native12_GLOBAL__N_144conv_depthwise3d_cuda_backward_weight_kernelIddLi1ELi1EEEvN5torch10headeronly6detail27GenericPackedTensorAccessorINS5_14TensorAccessorIN3c108ArrayRefIlEEKT_Lm4ENS4_16DefaultPtrTraitsEiEENS_6detail16IndexBoundsCheckILm5EiEESC_Lm5ESD_iEESI_NS6_INS7_ISA_SB_Lm4ESD_iEESH_SB_Lm5ESD_iEEiiiiiiiii
                                        ; -- End function
	.set _ZN2at6native12_GLOBAL__N_144conv_depthwise3d_cuda_backward_weight_kernelIddLi1ELi1EEEvN5torch10headeronly6detail27GenericPackedTensorAccessorINS5_14TensorAccessorIN3c108ArrayRefIlEEKT_Lm4ENS4_16DefaultPtrTraitsEiEENS_6detail16IndexBoundsCheckILm5EiEESC_Lm5ESD_iEESI_NS6_INS7_ISA_SB_Lm4ESD_iEESH_SB_Lm5ESD_iEEiiiiiiiii.num_vgpr, 22
	.set _ZN2at6native12_GLOBAL__N_144conv_depthwise3d_cuda_backward_weight_kernelIddLi1ELi1EEEvN5torch10headeronly6detail27GenericPackedTensorAccessorINS5_14TensorAccessorIN3c108ArrayRefIlEEKT_Lm4ENS4_16DefaultPtrTraitsEiEENS_6detail16IndexBoundsCheckILm5EiEESC_Lm5ESD_iEESI_NS6_INS7_ISA_SB_Lm4ESD_iEESH_SB_Lm5ESD_iEEiiiiiiiii.num_agpr, 0
	.set _ZN2at6native12_GLOBAL__N_144conv_depthwise3d_cuda_backward_weight_kernelIddLi1ELi1EEEvN5torch10headeronly6detail27GenericPackedTensorAccessorINS5_14TensorAccessorIN3c108ArrayRefIlEEKT_Lm4ENS4_16DefaultPtrTraitsEiEENS_6detail16IndexBoundsCheckILm5EiEESC_Lm5ESD_iEESI_NS6_INS7_ISA_SB_Lm4ESD_iEESH_SB_Lm5ESD_iEEiiiiiiiii.numbered_sgpr, 47
	.set _ZN2at6native12_GLOBAL__N_144conv_depthwise3d_cuda_backward_weight_kernelIddLi1ELi1EEEvN5torch10headeronly6detail27GenericPackedTensorAccessorINS5_14TensorAccessorIN3c108ArrayRefIlEEKT_Lm4ENS4_16DefaultPtrTraitsEiEENS_6detail16IndexBoundsCheckILm5EiEESC_Lm5ESD_iEESI_NS6_INS7_ISA_SB_Lm4ESD_iEESH_SB_Lm5ESD_iEEiiiiiiiii.num_named_barrier, 0
	.set _ZN2at6native12_GLOBAL__N_144conv_depthwise3d_cuda_backward_weight_kernelIddLi1ELi1EEEvN5torch10headeronly6detail27GenericPackedTensorAccessorINS5_14TensorAccessorIN3c108ArrayRefIlEEKT_Lm4ENS4_16DefaultPtrTraitsEiEENS_6detail16IndexBoundsCheckILm5EiEESC_Lm5ESD_iEESI_NS6_INS7_ISA_SB_Lm4ESD_iEESH_SB_Lm5ESD_iEEiiiiiiiii.private_seg_size, 0
	.set _ZN2at6native12_GLOBAL__N_144conv_depthwise3d_cuda_backward_weight_kernelIddLi1ELi1EEEvN5torch10headeronly6detail27GenericPackedTensorAccessorINS5_14TensorAccessorIN3c108ArrayRefIlEEKT_Lm4ENS4_16DefaultPtrTraitsEiEENS_6detail16IndexBoundsCheckILm5EiEESC_Lm5ESD_iEESI_NS6_INS7_ISA_SB_Lm4ESD_iEESH_SB_Lm5ESD_iEEiiiiiiiii.uses_vcc, 1
	.set _ZN2at6native12_GLOBAL__N_144conv_depthwise3d_cuda_backward_weight_kernelIddLi1ELi1EEEvN5torch10headeronly6detail27GenericPackedTensorAccessorINS5_14TensorAccessorIN3c108ArrayRefIlEEKT_Lm4ENS4_16DefaultPtrTraitsEiEENS_6detail16IndexBoundsCheckILm5EiEESC_Lm5ESD_iEESI_NS6_INS7_ISA_SB_Lm4ESD_iEESH_SB_Lm5ESD_iEEiiiiiiiii.uses_flat_scratch, 0
	.set _ZN2at6native12_GLOBAL__N_144conv_depthwise3d_cuda_backward_weight_kernelIddLi1ELi1EEEvN5torch10headeronly6detail27GenericPackedTensorAccessorINS5_14TensorAccessorIN3c108ArrayRefIlEEKT_Lm4ENS4_16DefaultPtrTraitsEiEENS_6detail16IndexBoundsCheckILm5EiEESC_Lm5ESD_iEESI_NS6_INS7_ISA_SB_Lm4ESD_iEESH_SB_Lm5ESD_iEEiiiiiiiii.has_dyn_sized_stack, 0
	.set _ZN2at6native12_GLOBAL__N_144conv_depthwise3d_cuda_backward_weight_kernelIddLi1ELi1EEEvN5torch10headeronly6detail27GenericPackedTensorAccessorINS5_14TensorAccessorIN3c108ArrayRefIlEEKT_Lm4ENS4_16DefaultPtrTraitsEiEENS_6detail16IndexBoundsCheckILm5EiEESC_Lm5ESD_iEESI_NS6_INS7_ISA_SB_Lm4ESD_iEESH_SB_Lm5ESD_iEEiiiiiiiii.has_recursion, 0
	.set _ZN2at6native12_GLOBAL__N_144conv_depthwise3d_cuda_backward_weight_kernelIddLi1ELi1EEEvN5torch10headeronly6detail27GenericPackedTensorAccessorINS5_14TensorAccessorIN3c108ArrayRefIlEEKT_Lm4ENS4_16DefaultPtrTraitsEiEENS_6detail16IndexBoundsCheckILm5EiEESC_Lm5ESD_iEESI_NS6_INS7_ISA_SB_Lm4ESD_iEESH_SB_Lm5ESD_iEEiiiiiiiii.has_indirect_call, 0
	.section	.AMDGPU.csdata,"",@progbits
; Kernel info:
; codeLenInByte = 1968
; TotalNumSgprs: 49
; NumVgprs: 22
; ScratchSize: 0
; MemoryBound: 0
; FloatMode: 240
; IeeeMode: 1
; LDSByteSize: 0 bytes/workgroup (compile time only)
; SGPRBlocks: 0
; VGPRBlocks: 2
; NumSGPRsForWavesPerEU: 49
; NumVGPRsForWavesPerEU: 22
; Occupancy: 16
; WaveLimiterHint : 1
; COMPUTE_PGM_RSRC2:SCRATCH_EN: 0
; COMPUTE_PGM_RSRC2:USER_SGPR: 6
; COMPUTE_PGM_RSRC2:TRAP_HANDLER: 0
; COMPUTE_PGM_RSRC2:TGID_X_EN: 1
; COMPUTE_PGM_RSRC2:TGID_Y_EN: 0
; COMPUTE_PGM_RSRC2:TGID_Z_EN: 0
; COMPUTE_PGM_RSRC2:TIDIG_COMP_CNT: 0
	.section	.text._ZN2at6native12_GLOBAL__N_144conv_depthwise3d_cuda_backward_weight_kernelIddLi2ELi2EEEvN5torch10headeronly6detail27GenericPackedTensorAccessorINS5_14TensorAccessorIN3c108ArrayRefIlEEKT_Lm4ENS4_16DefaultPtrTraitsEiEENS_6detail16IndexBoundsCheckILm5EiEESC_Lm5ESD_iEESI_NS6_INS7_ISA_SB_Lm4ESD_iEESH_SB_Lm5ESD_iEEiiiiiiiii,"axG",@progbits,_ZN2at6native12_GLOBAL__N_144conv_depthwise3d_cuda_backward_weight_kernelIddLi2ELi2EEEvN5torch10headeronly6detail27GenericPackedTensorAccessorINS5_14TensorAccessorIN3c108ArrayRefIlEEKT_Lm4ENS4_16DefaultPtrTraitsEiEENS_6detail16IndexBoundsCheckILm5EiEESC_Lm5ESD_iEESI_NS6_INS7_ISA_SB_Lm4ESD_iEESH_SB_Lm5ESD_iEEiiiiiiiii,comdat
	.globl	_ZN2at6native12_GLOBAL__N_144conv_depthwise3d_cuda_backward_weight_kernelIddLi2ELi2EEEvN5torch10headeronly6detail27GenericPackedTensorAccessorINS5_14TensorAccessorIN3c108ArrayRefIlEEKT_Lm4ENS4_16DefaultPtrTraitsEiEENS_6detail16IndexBoundsCheckILm5EiEESC_Lm5ESD_iEESI_NS6_INS7_ISA_SB_Lm4ESD_iEESH_SB_Lm5ESD_iEEiiiiiiiii ; -- Begin function _ZN2at6native12_GLOBAL__N_144conv_depthwise3d_cuda_backward_weight_kernelIddLi2ELi2EEEvN5torch10headeronly6detail27GenericPackedTensorAccessorINS5_14TensorAccessorIN3c108ArrayRefIlEEKT_Lm4ENS4_16DefaultPtrTraitsEiEENS_6detail16IndexBoundsCheckILm5EiEESC_Lm5ESD_iEESI_NS6_INS7_ISA_SB_Lm4ESD_iEESH_SB_Lm5ESD_iEEiiiiiiiii
	.p2align	8
	.type	_ZN2at6native12_GLOBAL__N_144conv_depthwise3d_cuda_backward_weight_kernelIddLi2ELi2EEEvN5torch10headeronly6detail27GenericPackedTensorAccessorINS5_14TensorAccessorIN3c108ArrayRefIlEEKT_Lm4ENS4_16DefaultPtrTraitsEiEENS_6detail16IndexBoundsCheckILm5EiEESC_Lm5ESD_iEESI_NS6_INS7_ISA_SB_Lm4ESD_iEESH_SB_Lm5ESD_iEEiiiiiiiii,@function
_ZN2at6native12_GLOBAL__N_144conv_depthwise3d_cuda_backward_weight_kernelIddLi2ELi2EEEvN5torch10headeronly6detail27GenericPackedTensorAccessorINS5_14TensorAccessorIN3c108ArrayRefIlEEKT_Lm4ENS4_16DefaultPtrTraitsEiEENS_6detail16IndexBoundsCheckILm5EiEESC_Lm5ESD_iEESI_NS6_INS7_ISA_SB_Lm4ESD_iEESH_SB_Lm5ESD_iEEiiiiiiiii: ; @_ZN2at6native12_GLOBAL__N_144conv_depthwise3d_cuda_backward_weight_kernelIddLi2ELi2EEEvN5torch10headeronly6detail27GenericPackedTensorAccessorINS5_14TensorAccessorIN3c108ArrayRefIlEEKT_Lm4ENS4_16DefaultPtrTraitsEiEENS_6detail16IndexBoundsCheckILm5EiEESC_Lm5ESD_iEESI_NS6_INS7_ISA_SB_Lm4ESD_iEESH_SB_Lm5ESD_iEEiiiiiiiii
; %bb.0:
	s_load_dwordx4 s[0:3], s[4:5], 0x70
	s_add_u32 s8, s4, 0x60
	s_addc_u32 s9, s5, 0
	s_waitcnt lgkmcnt(0)
	v_cvt_f32_u32_e32 v1, s2
	v_cvt_f32_u32_e32 v2, s1
	s_sub_i32 s10, 0, s2
	v_rcp_iflag_f32_e32 v1, v1
	v_rcp_iflag_f32_e32 v2, v2
	v_mul_f32_e32 v1, 0x4f7ffffe, v1
	v_mul_f32_e32 v2, 0x4f7ffffe, v2
	v_cvt_u32_f32_e32 v1, v1
	v_cvt_u32_f32_e32 v2, v2
	v_readfirstlane_b32 s7, v1
	v_cvt_f32_u32_e32 v1, s0
	v_readfirstlane_b32 s13, v2
	s_mul_i32 s10, s10, s7
	v_rcp_iflag_f32_e32 v1, v1
	s_mul_hi_u32 s10, s7, s10
	s_add_i32 s7, s7, s10
	s_mul_hi_u32 s7, s6, s7
	s_mul_i32 s10, s7, s2
	s_add_i32 s11, s7, 1
	s_sub_i32 s10, s6, s10
	v_mul_f32_e32 v1, 0x4f7ffffe, v1
	s_sub_i32 s12, s10, s2
	s_cmp_ge_u32 s10, s2
	s_cselect_b32 s7, s11, s7
	s_cselect_b32 s10, s12, s10
	s_add_i32 s11, s7, 1
	s_cmp_ge_u32 s10, s2
	v_cvt_u32_f32_e32 v1, v1
	s_cselect_b32 s20, s11, s7
	s_sub_i32 s7, 0, s1
	s_mul_i32 s7, s7, s13
	v_readfirstlane_b32 s16, v1
	s_mul_hi_u32 s7, s13, s7
	s_add_i32 s13, s13, s7
	s_mul_hi_u32 s7, s20, s13
	s_mul_i32 s10, s7, s1
	s_add_i32 s11, s7, 1
	s_sub_i32 s10, s20, s10
	s_sub_i32 s12, s10, s1
	s_cmp_ge_u32 s10, s1
	s_cselect_b32 s7, s11, s7
	s_cselect_b32 s10, s12, s10
	s_add_i32 s11, s7, 1
	s_cmp_ge_u32 s10, s1
	s_load_dwordx4 s[12:15], s[4:5], 0x3c
	s_cselect_b32 s21, s11, s7
	s_sub_i32 s7, 0, s0
	s_mul_i32 s7, s7, s16
	s_mul_hi_u32 s7, s16, s7
	s_add_i32 s16, s16, s7
	s_mul_hi_u32 s7, s21, s16
	s_mul_i32 s10, s7, s0
	s_add_i32 s11, s7, 1
	s_sub_i32 s10, s21, s10
	s_sub_i32 s16, s10, s0
	s_cmp_ge_u32 s10, s0
	s_cselect_b32 s7, s11, s7
	s_cselect_b32 s10, s16, s10
	s_add_i32 s11, s7, 1
	s_cmp_ge_u32 s10, s0
	s_load_dwordx4 s[16:19], s[4:5], 0xc
	s_cselect_b32 s7, s11, s7
	s_waitcnt lgkmcnt(0)
	s_abs_i32 s10, s12
	v_cvt_f32_u32_e32 v1, s10
	s_sub_i32 s22, 0, s10
	v_rcp_iflag_f32_e32 v1, v1
	v_mul_f32_e32 v1, 0x4f7ffffe, v1
	s_abs_i32 s23, s16
	s_xor_b32 s12, s16, s12
	s_ashr_i32 s12, s12, 31
	v_cvt_u32_f32_e32 v1, v1
	v_readfirstlane_b32 s11, v1
	s_mul_i32 s22, s22, s11
	s_mul_hi_u32 s22, s11, s22
	s_add_i32 s11, s11, s22
	s_mul_hi_u32 s11, s23, s11
	s_mul_i32 s16, s11, s10
	s_add_i32 s22, s11, 1
	s_sub_i32 s16, s23, s16
	s_sub_i32 s23, s16, s10
	s_cmp_ge_u32 s16, s10
	s_cselect_b32 s11, s22, s11
	s_cselect_b32 s16, s23, s16
	s_add_i32 s22, s11, 1
	s_cmp_ge_u32 s16, s10
	s_cselect_b32 s10, s22, s11
	s_xor_b32 s10, s10, s12
	s_sub_i32 s22, s10, s12
	s_load_dword s10, s[4:5], 0x68
	s_abs_i32 s39, s22
	v_cvt_f32_u32_e32 v1, s39
	v_rcp_iflag_f32_e32 v1, v1
	v_mul_f32_e32 v1, 0x4f7ffffe, v1
	s_waitcnt lgkmcnt(0)
	s_cmp_ge_i32 s7, s10
	v_cvt_u32_f32_e32 v1, v1
	v_readfirstlane_b32 s23, v1
	s_cbranch_scc1 .LBB33_28
; %bb.1:
	s_clause 0x1
	s_load_dword s36, s[4:5], 0x38
	s_load_dword s24, s[4:5], 0xc4
	s_clause 0x1
	s_load_dwordx2 s[34:35], s[8:9], 0x0
	s_load_dwordx4 s[8:11], s[8:9], 0x24
	v_mov_b32_e32 v1, 0
	v_lshrrev_b32_e32 v10, 5, v0
	v_mov_b32_e32 v2, 0
	s_mul_i32 s2, s20, s2
	s_mul_i32 s1, s21, s1
	;; [unrolled: 1-line block ×3, first 2 shown]
	s_sub_i32 s6, s6, s2
	s_sub_i32 s12, s20, s1
	;; [unrolled: 1-line block ×3, first 2 shown]
	s_mov_b32 s37, exec_lo
	s_waitcnt lgkmcnt(0)
	s_mul_i32 s36, s36, s17
	s_and_b32 s33, s24, 0xffff
	v_cmpx_gt_i32_e64 s36, v10
	s_cbranch_execz .LBB33_23
; %bb.2:
	s_sub_i32 s0, 0, s39
	s_abs_i32 s25, s7
	s_mul_i32 s0, s0, s23
	s_ashr_i32 s24, s22, 31
	s_mul_hi_u32 s0, s23, s0
	s_ashr_i32 s2, s7, 31
	s_add_i32 s23, s23, s0
	s_xor_b32 s2, s2, s24
	s_mul_hi_u32 s40, s25, s23
	s_clause 0x2
	s_load_dwordx4 s[28:31], s[4:5], 0x9c
	s_load_dwordx2 s[0:1], s[4:5], 0x0
	s_load_dwordx4 s[20:23], s[4:5], 0x1c
	s_waitcnt lgkmcnt(0)
	s_mul_i32 s23, s40, s39
	s_lshr_b32 s38, s33, 5
	s_sub_i32 s23, s25, s23
	s_load_dwordx4 s[24:27], s[4:5], 0x4c
	s_add_i32 s41, s40, 1
	s_sub_i32 s42, s23, s39
	s_cmp_ge_u32 s23, s39
	v_mov_b32_e32 v13, 0
	s_waitcnt lgkmcnt(0)
	s_cselect_b32 s27, s41, s40
	s_load_dwordx2 s[40:41], s[4:5], 0x30
	s_cselect_b32 s23, s42, s23
	s_add_i32 s42, s27, 1
	s_cmp_ge_u32 s23, s39
	s_cselect_b32 s23, s42, s27
	s_load_dwordx2 s[42:43], s[4:5], 0xac
	s_xor_b32 s23, s23, s2
	s_abs_i32 s39, s17
	s_sub_i32 s2, s23, s2
	s_mul_i32 s4, s21, s7
	s_mul_i32 s21, s16, s31
	s_ashr_i32 s5, s4, 31
	s_ashr_i32 s27, s17, 31
	s_lshl_b64 s[44:45], s[4:5], 3
	s_sub_i32 s46, 0, s39
	s_sub_i32 s4, s21, s28
	v_cvt_f32_u32_e32 v1, s39
	s_add_u32 s5, s0, s44
	s_mul_i32 s0, s25, s2
	s_addc_u32 s21, s1, s45
	s_ashr_i32 s1, s0, 31
	v_rcp_iflag_f32_e32 v1, v1
	s_lshl_b64 s[0:1], s[0:1], 3
	s_waitcnt lgkmcnt(0)
	s_add_u32 s23, s40, s0
	s_addc_u32 s25, s41, s1
	s_abs_i32 s1, s19
	v_cvt_f32_u32_e32 v2, s1
	s_sub_i32 s0, 0, s1
	v_mul_f32_e32 v1, 0x4f7ffffe, v1
	v_rcp_iflag_f32_e32 v2, v2
	v_cvt_u32_f32_e32 v1, v1
	v_mul_lo_u32 v3, s46, v1
	v_mul_f32_e32 v2, 0x4f7ffffe, v2
	v_cvt_u32_f32_e32 v2, v2
	v_mul_hi_u32 v3, v1, v3
	v_mul_lo_u32 v4, s0, v2
	v_add_nc_u32_e32 v1, v1, v3
	v_and_b32_e32 v3, 31, v0
	v_mul_hi_u32 v4, v2, v4
	v_mul_hi_u32 v1, v10, v1
	v_lshlrev_b32_e32 v16, 3, v3
	v_add_nc_u32_e32 v2, v2, v4
	v_mul_lo_u32 v4, v1, s39
	v_add_nc_u32_e32 v6, 1, v1
	v_mul_hi_u32 v2, v3, v2
	v_sub_nc_u32_e32 v4, v10, v4
	v_mul_lo_u32 v5, v2, s1
	v_cmp_le_u32_e32 vcc_lo, s39, v4
	v_add_nc_u32_e32 v7, 1, v2
	v_cndmask_b32_e32 v1, v1, v6, vcc_lo
	v_subrev_nc_u32_e32 v6, s39, v4
	v_sub_nc_u32_e32 v5, v3, v5
	v_cndmask_b32_e32 v4, v4, v6, vcc_lo
	v_subrev_nc_u32_e32 v8, s1, v5
	v_cmp_le_u32_e64 s0, s1, v5
	v_add_nc_u32_e32 v6, 1, v1
	v_cmp_le_u32_e32 vcc_lo, s39, v4
	v_cndmask_b32_e64 v2, v2, v7, s0
	v_cndmask_b32_e64 v5, v5, v8, s0
	s_ashr_i32 s0, s19, 31
	v_cndmask_b32_e32 v1, v1, v6, vcc_lo
	v_add_nc_u32_e32 v7, 1, v2
	v_cmp_le_u32_e32 vcc_lo, s1, v5
	s_mul_i32 s1, s12, s42
	v_xor_b32_e32 v1, s27, v1
	s_sub_i32 s29, s1, s29
	v_cndmask_b32_e32 v2, v2, v7, vcc_lo
	v_subrev_nc_u32_e32 v11, s27, v1
	s_mov_b32 s27, 0
	v_xor_b32_e32 v2, s0, v2
	v_mul_lo_u32 v4, v11, s17
	v_subrev_nc_u32_e32 v12, s0, v2
	v_mov_b32_e32 v1, 0
	v_mov_b32_e32 v2, 0
	s_mul_i32 s0, s6, s43
	v_mul_lo_u32 v5, v12, s19
	v_sub_nc_u32_e32 v14, v10, v4
	s_sub_i32 s28, s0, s30
	v_cmp_gt_i32_e32 vcc_lo, s18, v12
	v_sub_nc_u32_e32 v15, v3, v5
	s_branch .LBB33_6
.LBB33_3:                               ;   in Loop: Header=BB33_6 Depth=1
	s_or_b32 exec_lo, exec_lo, s39
.LBB33_4:                               ;   in Loop: Header=BB33_6 Depth=1
	s_or_b32 exec_lo, exec_lo, s31
.LBB33_5:                               ;   in Loop: Header=BB33_6 Depth=1
	s_or_b32 exec_lo, exec_lo, s30
	v_add_nc_u32_e32 v10, s38, v10
	v_add_nc_u32_e32 v14, s38, v14
	v_cmp_le_i32_e64 s0, s36, v10
	s_or_b32 s27, s0, s27
	s_andn2_b32 exec_lo, exec_lo, s27
	s_cbranch_execz .LBB33_22
.LBB33_6:                               ; =>This Loop Header: Depth=1
                                        ;     Child Loop BB33_8 Depth 2
                                        ;     Child Loop BB33_14 Depth 2
                                        ;       Child Loop BB33_20 Depth 3
	s_mov_b32 s1, exec_lo
	v_cmpx_le_i32_e64 s17, v14
	s_cbranch_execz .LBB33_10
; %bb.7:                                ;   in Loop: Header=BB33_6 Depth=1
	s_mov_b32 s2, 0
.LBB33_8:                               ;   Parent Loop BB33_6 Depth=1
                                        ; =>  This Inner Loop Header: Depth=2
	v_subrev_nc_u32_e32 v14, s17, v14
	v_add_nc_u32_e32 v11, 1, v11
	v_cmp_gt_i32_e64 s0, s17, v14
	s_or_b32 s2, s0, s2
	s_andn2_b32 exec_lo, exec_lo, s2
	s_cbranch_execnz .LBB33_8
; %bb.9:                                ;   in Loop: Header=BB33_6 Depth=1
	s_or_b32 exec_lo, exec_lo, s2
.LBB33_10:                              ;   in Loop: Header=BB33_6 Depth=1
	s_or_b32 exec_lo, exec_lo, s1
	v_mad_u64_u32 v[3:4], null, v14, s11, s[4:5]
	v_cmp_lt_i32_e64 s0, -1, v3
	v_cmp_gt_i32_e64 s1, s13, v3
	s_and_b32 s0, s0, s1
	s_and_saveexec_b32 s30, s0
	s_cbranch_execz .LBB33_5
; %bb.11:                               ;   in Loop: Header=BB33_6 Depth=1
	s_and_saveexec_b32 s31, vcc_lo
	s_cbranch_execz .LBB33_4
; %bb.12:                               ;   in Loop: Header=BB33_6 Depth=1
	v_mul_lo_u32 v4, s20, v11
	v_mul_lo_u32 v6, s24, v11
	;; [unrolled: 1-line block ×4, first 2 shown]
	v_mov_b32_e32 v19, v15
	v_mov_b32_e32 v20, v12
	s_mov_b32 s39, 0
	v_ashrrev_i32_e32 v5, 31, v4
	v_ashrrev_i32_e32 v7, 31, v6
	;; [unrolled: 1-line block ×4, first 2 shown]
	v_lshlrev_b64 v[3:4], 3, v[4:5]
	v_lshlrev_b64 v[5:6], 3, v[6:7]
	;; [unrolled: 1-line block ×4, first 2 shown]
	v_add_co_u32 v3, s0, s5, v3
	v_add_co_ci_u32_e64 v4, null, s21, v4, s0
	v_add_co_u32 v5, s0, s23, v5
	v_add_co_ci_u32_e64 v6, null, s25, v6, s0
	;; [unrolled: 2-line block ×5, first 2 shown]
	s_branch .LBB33_14
.LBB33_13:                              ;   in Loop: Header=BB33_14 Depth=2
	s_or_b32 exec_lo, exec_lo, s1
	s_waitcnt vmcnt(0)
	v_fma_f64 v[1:2], v[5:6], v[7:8], v[1:2]
	v_cmp_le_i32_e64 s0, s18, v20
	v_add_co_u32 v3, s1, 0x100, v3
	v_add_co_ci_u32_e64 v4, null, 0, v4, s1
	s_or_b32 s39, s0, s39
	s_andn2_b32 exec_lo, exec_lo, s39
	s_cbranch_execz .LBB33_3
.LBB33_14:                              ;   Parent Loop BB33_6 Depth=1
                                        ; =>  This Loop Header: Depth=2
                                        ;       Child Loop BB33_20 Depth 3
	global_load_dwordx2 v[5:6], v[3:4], off
	v_mov_b32_e32 v7, 0
	v_lshl_add_u32 v9, v19, 1, s28
	v_mov_b32_e32 v8, 0
	s_mov_b32 s40, exec_lo
	v_cmpx_lt_i32_e32 -1, v9
	s_cbranch_execz .LBB33_18
; %bb.15:                               ;   in Loop: Header=BB33_14 Depth=2
	v_lshl_add_u32 v21, v20, 1, s29
	v_cmp_gt_i32_e64 s0, s15, v9
	v_mov_b32_e32 v7, 0
	v_mov_b32_e32 v8, 0
	v_cmp_gt_i32_e64 s1, s14, v21
	v_cmp_lt_i32_e64 s2, -1, v21
	s_and_b32 s0, s0, s1
	s_and_b32 s0, s0, s2
	s_and_saveexec_b32 s1, s0
	s_cbranch_execz .LBB33_17
; %bb.16:                               ;   in Loop: Header=BB33_14 Depth=2
	v_mad_u64_u32 v[7:8], null, v21, s15, v[9:10]
	v_mov_b32_e32 v8, v13
	v_lshlrev_b64 v[7:8], 3, v[7:8]
	v_add_co_u32 v7, s0, v17, v7
	v_add_co_ci_u32_e64 v8, null, v18, v8, s0
	global_load_dwordx2 v[7:8], v[7:8], off
.LBB33_17:                              ;   in Loop: Header=BB33_14 Depth=2
	s_or_b32 exec_lo, exec_lo, s1
.LBB33_18:                              ;   in Loop: Header=BB33_14 Depth=2
	s_or_b32 exec_lo, exec_lo, s40
	v_add_nc_u32_e32 v19, 32, v19
	s_mov_b32 s1, exec_lo
	v_cmpx_le_i32_e64 s19, v19
	s_cbranch_execz .LBB33_13
; %bb.19:                               ;   in Loop: Header=BB33_14 Depth=2
	s_mov_b32 s2, 0
.LBB33_20:                              ;   Parent Loop BB33_6 Depth=1
                                        ;     Parent Loop BB33_14 Depth=2
                                        ; =>    This Inner Loop Header: Depth=3
	v_subrev_nc_u32_e32 v19, s19, v19
	v_add_nc_u32_e32 v20, 1, v20
	v_cmp_gt_i32_e64 s0, s19, v19
	s_or_b32 s2, s0, s2
	s_andn2_b32 exec_lo, exec_lo, s2
	s_cbranch_execnz .LBB33_20
; %bb.21:                               ;   in Loop: Header=BB33_14 Depth=2
	s_or_b32 exec_lo, exec_lo, s2
	s_branch .LBB33_13
.LBB33_22:
	s_or_b32 exec_lo, exec_lo, s27
.LBB33_23:
	s_or_b32 exec_lo, exec_lo, s37
	v_lshl_add_u32 v3, v0, 3, 0
	s_bcnt1_i32_b32 s0, s33
	s_cmp_lg_u32 s0, 1
	s_mov_b32 s0, -1
	ds_write_b64 v3, v[1:2]
	s_waitcnt lgkmcnt(0)
	s_barrier
	buffer_gl0_inv
	s_cbranch_scc1 .LBB33_32
; %bb.24:
	s_andn2_b32 vcc_lo, exec_lo, s0
	s_cbranch_vccnz .LBB33_28
.LBB33_25:
	s_cmp_lt_u32 s33, 2
	s_cbranch_scc0 .LBB33_30
.LBB33_26:
	s_mov_b32 s0, exec_lo
	v_cmpx_eq_u32_e32 0, v0
	s_cbranch_execz .LBB33_28
; %bb.27:
	s_mul_i32 s0, s3, s7
	v_mov_b32_e32 v2, 0
	s_ashr_i32 s1, s0, 31
	s_mul_i32 s2, s8, s16
	s_lshl_b64 s[0:1], s[0:1], 3
	ds_read_b64 v[0:1], v2
	s_add_u32 s4, s34, s0
	s_addc_u32 s5, s35, s1
	s_ashr_i32 s3, s2, 31
	s_lshl_b64 s[0:1], s[2:3], 3
	s_mul_i32 s2, s9, s12
	s_add_u32 s4, s4, s0
	s_addc_u32 s5, s5, s1
	s_ashr_i32 s3, s2, 31
	s_lshl_b64 s[0:1], s[2:3], 3
	s_add_u32 s2, s4, s0
	s_mul_i32 s0, s10, s6
	s_addc_u32 s3, s5, s1
	s_ashr_i32 s1, s0, 31
	s_lshl_b64 s[0:1], s[0:1], 3
	s_add_u32 s0, s2, s0
	s_addc_u32 s1, s3, s1
	s_waitcnt lgkmcnt(0)
	global_store_dwordx2 v2, v[0:1], s[0:1]
.LBB33_28:
	s_endpgm
	.p2align	6
.LBB33_29:                              ;   in Loop: Header=BB33_30 Depth=1
	s_or_b32 exec_lo, exec_lo, s1
	s_cmp_lt_u32 s33, 4
	s_mov_b32 s33, s0
	s_waitcnt lgkmcnt(0)
	s_barrier
	buffer_gl0_inv
	s_cbranch_scc1 .LBB33_26
.LBB33_30:                              ; =>This Inner Loop Header: Depth=1
	s_lshr_b32 s0, s33, 1
	s_mov_b32 s1, exec_lo
	v_cmpx_gt_u32_e64 s0, v0
	s_cbranch_execz .LBB33_29
; %bb.31:                               ;   in Loop: Header=BB33_30 Depth=1
	v_lshl_add_u32 v1, s0, 3, v3
	ds_read_b64 v[1:2], v1
	ds_read_b64 v[4:5], v3
	s_waitcnt lgkmcnt(0)
	v_add_f64 v[1:2], v[1:2], v[4:5]
	ds_write_b64 v3, v[1:2]
	s_branch .LBB33_29
.LBB33_32:
	s_trap 2
	; divergent unreachable
	s_cbranch_execz .LBB33_25
	s_branch .LBB33_28
	.section	.rodata,"a",@progbits
	.p2align	6, 0x0
	.amdhsa_kernel _ZN2at6native12_GLOBAL__N_144conv_depthwise3d_cuda_backward_weight_kernelIddLi2ELi2EEEvN5torch10headeronly6detail27GenericPackedTensorAccessorINS5_14TensorAccessorIN3c108ArrayRefIlEEKT_Lm4ENS4_16DefaultPtrTraitsEiEENS_6detail16IndexBoundsCheckILm5EiEESC_Lm5ESD_iEESI_NS6_INS7_ISA_SB_Lm4ESD_iEESH_SB_Lm5ESD_iEEiiiiiiiii
		.amdhsa_group_segment_fixed_size 0
		.amdhsa_private_segment_fixed_size 0
		.amdhsa_kernarg_size 440
		.amdhsa_user_sgpr_count 6
		.amdhsa_user_sgpr_private_segment_buffer 1
		.amdhsa_user_sgpr_dispatch_ptr 0
		.amdhsa_user_sgpr_queue_ptr 0
		.amdhsa_user_sgpr_kernarg_segment_ptr 1
		.amdhsa_user_sgpr_dispatch_id 0
		.amdhsa_user_sgpr_flat_scratch_init 0
		.amdhsa_user_sgpr_private_segment_size 0
		.amdhsa_wavefront_size32 1
		.amdhsa_uses_dynamic_stack 0
		.amdhsa_system_sgpr_private_segment_wavefront_offset 0
		.amdhsa_system_sgpr_workgroup_id_x 1
		.amdhsa_system_sgpr_workgroup_id_y 0
		.amdhsa_system_sgpr_workgroup_id_z 0
		.amdhsa_system_sgpr_workgroup_info 0
		.amdhsa_system_vgpr_workitem_id 0
		.amdhsa_next_free_vgpr 22
		.amdhsa_next_free_sgpr 47
		.amdhsa_reserve_vcc 1
		.amdhsa_reserve_flat_scratch 0
		.amdhsa_float_round_mode_32 0
		.amdhsa_float_round_mode_16_64 0
		.amdhsa_float_denorm_mode_32 3
		.amdhsa_float_denorm_mode_16_64 3
		.amdhsa_dx10_clamp 1
		.amdhsa_ieee_mode 1
		.amdhsa_fp16_overflow 0
		.amdhsa_workgroup_processor_mode 1
		.amdhsa_memory_ordered 1
		.amdhsa_forward_progress 1
		.amdhsa_shared_vgpr_count 0
		.amdhsa_exception_fp_ieee_invalid_op 0
		.amdhsa_exception_fp_denorm_src 0
		.amdhsa_exception_fp_ieee_div_zero 0
		.amdhsa_exception_fp_ieee_overflow 0
		.amdhsa_exception_fp_ieee_underflow 0
		.amdhsa_exception_fp_ieee_inexact 0
		.amdhsa_exception_int_div_zero 0
	.end_amdhsa_kernel
	.section	.text._ZN2at6native12_GLOBAL__N_144conv_depthwise3d_cuda_backward_weight_kernelIddLi2ELi2EEEvN5torch10headeronly6detail27GenericPackedTensorAccessorINS5_14TensorAccessorIN3c108ArrayRefIlEEKT_Lm4ENS4_16DefaultPtrTraitsEiEENS_6detail16IndexBoundsCheckILm5EiEESC_Lm5ESD_iEESI_NS6_INS7_ISA_SB_Lm4ESD_iEESH_SB_Lm5ESD_iEEiiiiiiiii,"axG",@progbits,_ZN2at6native12_GLOBAL__N_144conv_depthwise3d_cuda_backward_weight_kernelIddLi2ELi2EEEvN5torch10headeronly6detail27GenericPackedTensorAccessorINS5_14TensorAccessorIN3c108ArrayRefIlEEKT_Lm4ENS4_16DefaultPtrTraitsEiEENS_6detail16IndexBoundsCheckILm5EiEESC_Lm5ESD_iEESI_NS6_INS7_ISA_SB_Lm4ESD_iEESH_SB_Lm5ESD_iEEiiiiiiiii,comdat
.Lfunc_end33:
	.size	_ZN2at6native12_GLOBAL__N_144conv_depthwise3d_cuda_backward_weight_kernelIddLi2ELi2EEEvN5torch10headeronly6detail27GenericPackedTensorAccessorINS5_14TensorAccessorIN3c108ArrayRefIlEEKT_Lm4ENS4_16DefaultPtrTraitsEiEENS_6detail16IndexBoundsCheckILm5EiEESC_Lm5ESD_iEESI_NS6_INS7_ISA_SB_Lm4ESD_iEESH_SB_Lm5ESD_iEEiiiiiiiii, .Lfunc_end33-_ZN2at6native12_GLOBAL__N_144conv_depthwise3d_cuda_backward_weight_kernelIddLi2ELi2EEEvN5torch10headeronly6detail27GenericPackedTensorAccessorINS5_14TensorAccessorIN3c108ArrayRefIlEEKT_Lm4ENS4_16DefaultPtrTraitsEiEENS_6detail16IndexBoundsCheckILm5EiEESC_Lm5ESD_iEESI_NS6_INS7_ISA_SB_Lm4ESD_iEESH_SB_Lm5ESD_iEEiiiiiiiii
                                        ; -- End function
	.set _ZN2at6native12_GLOBAL__N_144conv_depthwise3d_cuda_backward_weight_kernelIddLi2ELi2EEEvN5torch10headeronly6detail27GenericPackedTensorAccessorINS5_14TensorAccessorIN3c108ArrayRefIlEEKT_Lm4ENS4_16DefaultPtrTraitsEiEENS_6detail16IndexBoundsCheckILm5EiEESC_Lm5ESD_iEESI_NS6_INS7_ISA_SB_Lm4ESD_iEESH_SB_Lm5ESD_iEEiiiiiiiii.num_vgpr, 22
	.set _ZN2at6native12_GLOBAL__N_144conv_depthwise3d_cuda_backward_weight_kernelIddLi2ELi2EEEvN5torch10headeronly6detail27GenericPackedTensorAccessorINS5_14TensorAccessorIN3c108ArrayRefIlEEKT_Lm4ENS4_16DefaultPtrTraitsEiEENS_6detail16IndexBoundsCheckILm5EiEESC_Lm5ESD_iEESI_NS6_INS7_ISA_SB_Lm4ESD_iEESH_SB_Lm5ESD_iEEiiiiiiiii.num_agpr, 0
	.set _ZN2at6native12_GLOBAL__N_144conv_depthwise3d_cuda_backward_weight_kernelIddLi2ELi2EEEvN5torch10headeronly6detail27GenericPackedTensorAccessorINS5_14TensorAccessorIN3c108ArrayRefIlEEKT_Lm4ENS4_16DefaultPtrTraitsEiEENS_6detail16IndexBoundsCheckILm5EiEESC_Lm5ESD_iEESI_NS6_INS7_ISA_SB_Lm4ESD_iEESH_SB_Lm5ESD_iEEiiiiiiiii.numbered_sgpr, 47
	.set _ZN2at6native12_GLOBAL__N_144conv_depthwise3d_cuda_backward_weight_kernelIddLi2ELi2EEEvN5torch10headeronly6detail27GenericPackedTensorAccessorINS5_14TensorAccessorIN3c108ArrayRefIlEEKT_Lm4ENS4_16DefaultPtrTraitsEiEENS_6detail16IndexBoundsCheckILm5EiEESC_Lm5ESD_iEESI_NS6_INS7_ISA_SB_Lm4ESD_iEESH_SB_Lm5ESD_iEEiiiiiiiii.num_named_barrier, 0
	.set _ZN2at6native12_GLOBAL__N_144conv_depthwise3d_cuda_backward_weight_kernelIddLi2ELi2EEEvN5torch10headeronly6detail27GenericPackedTensorAccessorINS5_14TensorAccessorIN3c108ArrayRefIlEEKT_Lm4ENS4_16DefaultPtrTraitsEiEENS_6detail16IndexBoundsCheckILm5EiEESC_Lm5ESD_iEESI_NS6_INS7_ISA_SB_Lm4ESD_iEESH_SB_Lm5ESD_iEEiiiiiiiii.private_seg_size, 0
	.set _ZN2at6native12_GLOBAL__N_144conv_depthwise3d_cuda_backward_weight_kernelIddLi2ELi2EEEvN5torch10headeronly6detail27GenericPackedTensorAccessorINS5_14TensorAccessorIN3c108ArrayRefIlEEKT_Lm4ENS4_16DefaultPtrTraitsEiEENS_6detail16IndexBoundsCheckILm5EiEESC_Lm5ESD_iEESI_NS6_INS7_ISA_SB_Lm4ESD_iEESH_SB_Lm5ESD_iEEiiiiiiiii.uses_vcc, 1
	.set _ZN2at6native12_GLOBAL__N_144conv_depthwise3d_cuda_backward_weight_kernelIddLi2ELi2EEEvN5torch10headeronly6detail27GenericPackedTensorAccessorINS5_14TensorAccessorIN3c108ArrayRefIlEEKT_Lm4ENS4_16DefaultPtrTraitsEiEENS_6detail16IndexBoundsCheckILm5EiEESC_Lm5ESD_iEESI_NS6_INS7_ISA_SB_Lm4ESD_iEESH_SB_Lm5ESD_iEEiiiiiiiii.uses_flat_scratch, 0
	.set _ZN2at6native12_GLOBAL__N_144conv_depthwise3d_cuda_backward_weight_kernelIddLi2ELi2EEEvN5torch10headeronly6detail27GenericPackedTensorAccessorINS5_14TensorAccessorIN3c108ArrayRefIlEEKT_Lm4ENS4_16DefaultPtrTraitsEiEENS_6detail16IndexBoundsCheckILm5EiEESC_Lm5ESD_iEESI_NS6_INS7_ISA_SB_Lm4ESD_iEESH_SB_Lm5ESD_iEEiiiiiiiii.has_dyn_sized_stack, 0
	.set _ZN2at6native12_GLOBAL__N_144conv_depthwise3d_cuda_backward_weight_kernelIddLi2ELi2EEEvN5torch10headeronly6detail27GenericPackedTensorAccessorINS5_14TensorAccessorIN3c108ArrayRefIlEEKT_Lm4ENS4_16DefaultPtrTraitsEiEENS_6detail16IndexBoundsCheckILm5EiEESC_Lm5ESD_iEESI_NS6_INS7_ISA_SB_Lm4ESD_iEESH_SB_Lm5ESD_iEEiiiiiiiii.has_recursion, 0
	.set _ZN2at6native12_GLOBAL__N_144conv_depthwise3d_cuda_backward_weight_kernelIddLi2ELi2EEEvN5torch10headeronly6detail27GenericPackedTensorAccessorINS5_14TensorAccessorIN3c108ArrayRefIlEEKT_Lm4ENS4_16DefaultPtrTraitsEiEENS_6detail16IndexBoundsCheckILm5EiEESC_Lm5ESD_iEESI_NS6_INS7_ISA_SB_Lm4ESD_iEESH_SB_Lm5ESD_iEEiiiiiiiii.has_indirect_call, 0
	.section	.AMDGPU.csdata,"",@progbits
; Kernel info:
; codeLenInByte = 1968
; TotalNumSgprs: 49
; NumVgprs: 22
; ScratchSize: 0
; MemoryBound: 0
; FloatMode: 240
; IeeeMode: 1
; LDSByteSize: 0 bytes/workgroup (compile time only)
; SGPRBlocks: 0
; VGPRBlocks: 2
; NumSGPRsForWavesPerEU: 49
; NumVGPRsForWavesPerEU: 22
; Occupancy: 16
; WaveLimiterHint : 1
; COMPUTE_PGM_RSRC2:SCRATCH_EN: 0
; COMPUTE_PGM_RSRC2:USER_SGPR: 6
; COMPUTE_PGM_RSRC2:TRAP_HANDLER: 0
; COMPUTE_PGM_RSRC2:TGID_X_EN: 1
; COMPUTE_PGM_RSRC2:TGID_Y_EN: 0
; COMPUTE_PGM_RSRC2:TGID_Z_EN: 0
; COMPUTE_PGM_RSRC2:TIDIG_COMP_CNT: 0
	.section	.text._ZN2at6native12_GLOBAL__N_144conv_depthwise3d_cuda_backward_weight_kernelIddLin1ELin1EEEvN5torch10headeronly6detail27GenericPackedTensorAccessorINS5_14TensorAccessorIN3c108ArrayRefIlEEKT_Lm4ENS4_16DefaultPtrTraitsEiEENS_6detail16IndexBoundsCheckILm5EiEESC_Lm5ESD_iEESI_NS6_INS7_ISA_SB_Lm4ESD_iEESH_SB_Lm5ESD_iEEiiiiiiiii,"axG",@progbits,_ZN2at6native12_GLOBAL__N_144conv_depthwise3d_cuda_backward_weight_kernelIddLin1ELin1EEEvN5torch10headeronly6detail27GenericPackedTensorAccessorINS5_14TensorAccessorIN3c108ArrayRefIlEEKT_Lm4ENS4_16DefaultPtrTraitsEiEENS_6detail16IndexBoundsCheckILm5EiEESC_Lm5ESD_iEESI_NS6_INS7_ISA_SB_Lm4ESD_iEESH_SB_Lm5ESD_iEEiiiiiiiii,comdat
	.globl	_ZN2at6native12_GLOBAL__N_144conv_depthwise3d_cuda_backward_weight_kernelIddLin1ELin1EEEvN5torch10headeronly6detail27GenericPackedTensorAccessorINS5_14TensorAccessorIN3c108ArrayRefIlEEKT_Lm4ENS4_16DefaultPtrTraitsEiEENS_6detail16IndexBoundsCheckILm5EiEESC_Lm5ESD_iEESI_NS6_INS7_ISA_SB_Lm4ESD_iEESH_SB_Lm5ESD_iEEiiiiiiiii ; -- Begin function _ZN2at6native12_GLOBAL__N_144conv_depthwise3d_cuda_backward_weight_kernelIddLin1ELin1EEEvN5torch10headeronly6detail27GenericPackedTensorAccessorINS5_14TensorAccessorIN3c108ArrayRefIlEEKT_Lm4ENS4_16DefaultPtrTraitsEiEENS_6detail16IndexBoundsCheckILm5EiEESC_Lm5ESD_iEESI_NS6_INS7_ISA_SB_Lm4ESD_iEESH_SB_Lm5ESD_iEEiiiiiiiii
	.p2align	8
	.type	_ZN2at6native12_GLOBAL__N_144conv_depthwise3d_cuda_backward_weight_kernelIddLin1ELin1EEEvN5torch10headeronly6detail27GenericPackedTensorAccessorINS5_14TensorAccessorIN3c108ArrayRefIlEEKT_Lm4ENS4_16DefaultPtrTraitsEiEENS_6detail16IndexBoundsCheckILm5EiEESC_Lm5ESD_iEESI_NS6_INS7_ISA_SB_Lm4ESD_iEESH_SB_Lm5ESD_iEEiiiiiiiii,@function
_ZN2at6native12_GLOBAL__N_144conv_depthwise3d_cuda_backward_weight_kernelIddLin1ELin1EEEvN5torch10headeronly6detail27GenericPackedTensorAccessorINS5_14TensorAccessorIN3c108ArrayRefIlEEKT_Lm4ENS4_16DefaultPtrTraitsEiEENS_6detail16IndexBoundsCheckILm5EiEESC_Lm5ESD_iEESI_NS6_INS7_ISA_SB_Lm4ESD_iEESH_SB_Lm5ESD_iEEiiiiiiiii: ; @_ZN2at6native12_GLOBAL__N_144conv_depthwise3d_cuda_backward_weight_kernelIddLin1ELin1EEEvN5torch10headeronly6detail27GenericPackedTensorAccessorINS5_14TensorAccessorIN3c108ArrayRefIlEEKT_Lm4ENS4_16DefaultPtrTraitsEiEENS_6detail16IndexBoundsCheckILm5EiEESC_Lm5ESD_iEESI_NS6_INS7_ISA_SB_Lm4ESD_iEESH_SB_Lm5ESD_iEEiiiiiiiii
; %bb.0:
	s_load_dwordx4 s[0:3], s[4:5], 0x70
	s_add_u32 s8, s4, 0x60
	s_addc_u32 s9, s5, 0
	s_clause 0x1
	s_load_dwordx4 s[16:19], s[4:5], 0x3c
	s_load_dwordx4 s[20:23], s[4:5], 0xc
	s_waitcnt lgkmcnt(0)
	v_cvt_f32_u32_e32 v1, s2
	v_cvt_f32_u32_e32 v2, s1
	s_sub_i32 s10, 0, s2
	v_rcp_iflag_f32_e32 v1, v1
	v_rcp_iflag_f32_e32 v2, v2
	v_mul_f32_e32 v1, 0x4f7ffffe, v1
	v_mul_f32_e32 v2, 0x4f7ffffe, v2
	v_cvt_u32_f32_e32 v1, v1
	v_cvt_u32_f32_e32 v2, v2
	v_readfirstlane_b32 s7, v1
	v_cvt_f32_u32_e32 v1, s0
	v_readfirstlane_b32 s13, v2
	s_mul_i32 s10, s10, s7
	v_rcp_iflag_f32_e32 v1, v1
	s_mul_hi_u32 s10, s7, s10
	s_add_i32 s7, s7, s10
	s_mul_hi_u32 s7, s6, s7
	s_mul_i32 s10, s7, s2
	s_add_i32 s11, s7, 1
	s_sub_i32 s10, s6, s10
	v_mul_f32_e32 v1, 0x4f7ffffe, v1
	s_sub_i32 s12, s10, s2
	s_cmp_ge_u32 s10, s2
	s_cselect_b32 s7, s11, s7
	s_cselect_b32 s10, s12, s10
	s_add_i32 s11, s7, 1
	s_cmp_ge_u32 s10, s2
	v_cvt_u32_f32_e32 v1, v1
	s_cselect_b32 s24, s11, s7
	s_sub_i32 s7, 0, s1
	s_mul_i32 s7, s7, s13
	s_mul_hi_u32 s7, s13, s7
	s_add_i32 s13, s13, s7
	s_mul_hi_u32 s7, s24, s13
	v_readfirstlane_b32 s13, v1
	s_mul_i32 s10, s7, s1
	s_add_i32 s11, s7, 1
	s_sub_i32 s10, s24, s10
	s_sub_i32 s12, s10, s1
	s_cmp_ge_u32 s10, s1
	s_cselect_b32 s7, s11, s7
	s_cselect_b32 s10, s12, s10
	s_add_i32 s11, s7, 1
	s_cmp_ge_u32 s10, s1
	s_cselect_b32 s25, s11, s7
	s_sub_i32 s7, 0, s0
	s_mul_i32 s7, s7, s13
	s_mul_hi_u32 s7, s13, s7
	s_add_i32 s13, s13, s7
	s_mul_hi_u32 s7, s25, s13
	s_mul_i32 s10, s7, s0
	s_add_i32 s11, s7, 1
	s_sub_i32 s10, s25, s10
	s_sub_i32 s12, s10, s0
	s_cmp_ge_u32 s10, s0
	s_cselect_b32 s7, s11, s7
	s_cselect_b32 s10, s12, s10
	s_add_i32 s11, s7, 1
	s_cmp_ge_u32 s10, s0
	s_cselect_b32 s7, s11, s7
	s_abs_i32 s10, s16
	s_abs_i32 s13, s20
	v_cvt_f32_u32_e32 v1, s10
	s_sub_i32 s12, 0, s10
	v_rcp_iflag_f32_e32 v1, v1
	v_mul_f32_e32 v1, 0x4f7ffffe, v1
	v_cvt_u32_f32_e32 v1, v1
	v_readfirstlane_b32 s11, v1
	s_mul_i32 s12, s12, s11
	s_mul_hi_u32 s12, s11, s12
	s_add_i32 s11, s11, s12
	s_xor_b32 s12, s20, s16
	s_mul_hi_u32 s11, s13, s11
	s_ashr_i32 s12, s12, 31
	s_mul_i32 s14, s11, s10
	s_sub_i32 s13, s13, s14
	s_add_i32 s14, s11, 1
	s_sub_i32 s15, s13, s10
	s_cmp_ge_u32 s13, s10
	s_cselect_b32 s11, s14, s11
	s_cselect_b32 s13, s15, s13
	s_add_i32 s14, s11, 1
	s_cmp_ge_u32 s13, s10
	s_cselect_b32 s10, s14, s11
	s_xor_b32 s10, s10, s12
	s_sub_i32 s26, s10, s12
	s_load_dword s10, s[4:5], 0x68
	s_abs_i32 s44, s26
	v_cvt_f32_u32_e32 v1, s44
	v_rcp_iflag_f32_e32 v1, v1
	v_mul_f32_e32 v1, 0x4f7ffffe, v1
	s_waitcnt lgkmcnt(0)
	s_cmp_ge_i32 s7, s10
	v_cvt_u32_f32_e32 v1, v1
	v_readfirstlane_b32 s27, v1
	s_cbranch_scc1 .LBB34_28
; %bb.1:
	s_clause 0x1
	s_load_dword s41, s[4:5], 0x38
	s_load_dwordx4 s[36:39], s[8:9], 0x44
	s_load_dword s28, s[4:5], 0xc4
	s_clause 0x1
	s_load_dwordx2 s[34:35], s[8:9], 0x0
	s_load_dwordx8 s[8:15], s[8:9], 0x24
	v_mov_b32_e32 v1, 0
	v_lshrrev_b32_e32 v12, 5, v0
	v_mov_b32_e32 v2, 0
	s_mul_i32 s2, s24, s2
	s_mul_i32 s1, s25, s1
	;; [unrolled: 1-line block ×3, first 2 shown]
	s_sub_i32 s16, s6, s2
	s_sub_i32 s20, s24, s1
	;; [unrolled: 1-line block ×3, first 2 shown]
	s_mov_b32 s42, exec_lo
	s_waitcnt lgkmcnt(0)
	s_mul_i32 s41, s41, s21
	s_and_b32 s40, s28, 0xffff
	v_cmpx_gt_i32_e64 s41, v12
	s_cbranch_execz .LBB34_23
; %bb.2:
	s_sub_i32 s0, 0, s44
	s_abs_i32 s28, s7
	s_mul_i32 s0, s0, s27
	s_ashr_i32 s6, s26, 31
	s_mul_hi_u32 s0, s27, s0
	s_ashr_i32 s2, s7, 31
	s_add_i32 s27, s27, s0
	s_xor_b32 s2, s2, s6
	s_mul_hi_u32 s45, s28, s27
	s_clause 0x1
	s_load_dwordx2 s[0:1], s[4:5], 0x0
	s_load_dwordx4 s[24:27], s[4:5], 0x1c
	s_waitcnt lgkmcnt(0)
	s_mul_i32 s27, s45, s44
	s_lshr_b32 s43, s40, 5
	s_sub_i32 s6, s28, s27
	s_add_i32 s27, s45, 1
	s_sub_i32 s46, s6, s44
	s_load_dwordx4 s[28:31], s[4:5], 0x4c
	s_cmp_ge_u32 s6, s44
	v_mov_b32_e32 v15, 0
	s_cselect_b32 s27, s27, s45
	s_cselect_b32 s6, s46, s6
	s_waitcnt lgkmcnt(0)
	s_add_i32 s31, s27, 1
	s_cmp_ge_u32 s6, s44
	s_load_dwordx2 s[44:45], s[4:5], 0x30
	s_cselect_b32 s4, s31, s27
	s_abs_i32 s31, s21
	s_xor_b32 s4, s4, s2
	s_ashr_i32 s6, s21, 31
	s_sub_i32 s2, s4, s2
	s_sub_i32 s48, 0, s31
	s_mul_i32 s4, s25, s7
	s_mul_i32 s25, s33, s37
	s_ashr_i32 s5, s4, 31
	v_cvt_f32_u32_e32 v1, s31
	s_lshl_b64 s[46:47], s[4:5], 3
	s_sub_i32 s4, s25, s14
	s_add_u32 s5, s0, s46
	s_mul_i32 s0, s29, s2
	s_addc_u32 s25, s1, s47
	s_ashr_i32 s1, s0, 31
	v_rcp_iflag_f32_e32 v1, v1
	s_lshl_b64 s[0:1], s[0:1], 3
	s_waitcnt lgkmcnt(0)
	s_add_u32 s27, s44, s0
	s_addc_u32 s29, s45, s1
	s_abs_i32 s1, s23
	v_cvt_f32_u32_e32 v2, s1
	s_sub_i32 s0, 0, s1
	v_mul_f32_e32 v1, 0x4f7ffffe, v1
	v_rcp_iflag_f32_e32 v2, v2
	v_cvt_u32_f32_e32 v1, v1
	v_mul_lo_u32 v3, s48, v1
	v_mul_f32_e32 v2, 0x4f7ffffe, v2
	v_cvt_u32_f32_e32 v2, v2
	v_mul_hi_u32 v3, v1, v3
	v_mul_lo_u32 v4, s0, v2
	v_add_nc_u32_e32 v1, v1, v3
	v_and_b32_e32 v3, 31, v0
	v_mul_hi_u32 v4, v2, v4
	v_mul_hi_u32 v1, v12, v1
	v_lshlrev_b32_e32 v18, 3, v3
	v_add_nc_u32_e32 v2, v2, v4
	v_mul_lo_u32 v4, v1, s31
	v_add_nc_u32_e32 v6, 1, v1
	v_mul_hi_u32 v2, v3, v2
	v_sub_nc_u32_e32 v4, v12, v4
	v_mul_lo_u32 v5, v2, s1
	v_cmp_le_u32_e32 vcc_lo, s31, v4
	v_add_nc_u32_e32 v7, 1, v2
	v_cndmask_b32_e32 v1, v1, v6, vcc_lo
	v_subrev_nc_u32_e32 v6, s31, v4
	v_sub_nc_u32_e32 v5, v3, v5
	v_cndmask_b32_e32 v4, v4, v6, vcc_lo
	v_subrev_nc_u32_e32 v8, s1, v5
	v_cmp_le_u32_e64 s0, s1, v5
	v_add_nc_u32_e32 v6, 1, v1
	v_cmp_le_u32_e32 vcc_lo, s31, v4
	s_mov_b32 s31, 0
	v_cndmask_b32_e64 v2, v2, v7, s0
	v_cndmask_b32_e64 v5, v5, v8, s0
	s_ashr_i32 s0, s23, 31
	v_cndmask_b32_e32 v1, v1, v6, vcc_lo
	v_add_nc_u32_e32 v7, 1, v2
	v_cmp_le_u32_e32 vcc_lo, s1, v5
	s_mul_i32 s1, s20, s38
	v_xor_b32_e32 v1, s6, v1
	s_sub_i32 s14, s1, s15
	v_cndmask_b32_e32 v2, v2, v7, vcc_lo
	v_subrev_nc_u32_e32 v13, s6, v1
	v_xor_b32_e32 v2, s0, v2
	v_mul_lo_u32 v4, v13, s21
	v_subrev_nc_u32_e32 v14, s0, v2
	v_mov_b32_e32 v1, 0
	v_mov_b32_e32 v2, 0
	s_mul_i32 s0, s16, s39
	v_mul_lo_u32 v5, v14, s23
	v_sub_nc_u32_e32 v16, v12, v4
	s_sub_i32 s6, s0, s36
	v_cmp_gt_i32_e32 vcc_lo, s22, v14
	v_sub_nc_u32_e32 v17, v3, v5
	s_branch .LBB34_6
.LBB34_3:                               ;   in Loop: Header=BB34_6 Depth=1
	s_or_b32 exec_lo, exec_lo, s37
.LBB34_4:                               ;   in Loop: Header=BB34_6 Depth=1
	s_or_b32 exec_lo, exec_lo, s36
.LBB34_5:                               ;   in Loop: Header=BB34_6 Depth=1
	s_or_b32 exec_lo, exec_lo, s15
	v_add_nc_u32_e32 v12, s43, v12
	v_add_nc_u32_e32 v16, s43, v16
	v_cmp_le_i32_e64 s0, s41, v12
	s_or_b32 s31, s0, s31
	s_andn2_b32 exec_lo, exec_lo, s31
	s_cbranch_execz .LBB34_22
.LBB34_6:                               ; =>This Loop Header: Depth=1
                                        ;     Child Loop BB34_8 Depth 2
                                        ;     Child Loop BB34_14 Depth 2
                                        ;       Child Loop BB34_20 Depth 3
	s_mov_b32 s1, exec_lo
	v_cmpx_le_i32_e64 s21, v16
	s_cbranch_execz .LBB34_10
; %bb.7:                                ;   in Loop: Header=BB34_6 Depth=1
	s_mov_b32 s2, 0
.LBB34_8:                               ;   Parent Loop BB34_6 Depth=1
                                        ; =>  This Inner Loop Header: Depth=2
	v_subrev_nc_u32_e32 v16, s21, v16
	v_add_nc_u32_e32 v13, 1, v13
	v_cmp_gt_i32_e64 s0, s21, v16
	s_or_b32 s2, s0, s2
	s_andn2_b32 exec_lo, exec_lo, s2
	s_cbranch_execnz .LBB34_8
; %bb.9:                                ;   in Loop: Header=BB34_6 Depth=1
	s_or_b32 exec_lo, exec_lo, s2
.LBB34_10:                              ;   in Loop: Header=BB34_6 Depth=1
	s_or_b32 exec_lo, exec_lo, s1
	v_mad_u64_u32 v[3:4], null, v16, s11, s[4:5]
	v_cmp_lt_i32_e64 s0, -1, v3
	v_cmp_gt_i32_e64 s1, s17, v3
	s_and_b32 s0, s0, s1
	s_and_saveexec_b32 s15, s0
	s_cbranch_execz .LBB34_5
; %bb.11:                               ;   in Loop: Header=BB34_6 Depth=1
	s_and_saveexec_b32 s36, vcc_lo
	s_cbranch_execz .LBB34_4
; %bb.12:                               ;   in Loop: Header=BB34_6 Depth=1
	v_mul_lo_u32 v4, s24, v13
	v_mul_lo_u32 v6, s28, v13
	;; [unrolled: 1-line block ×4, first 2 shown]
	v_mov_b32_e32 v21, v17
	v_mov_b32_e32 v22, v14
	s_mov_b32 s37, 0
	v_ashrrev_i32_e32 v5, 31, v4
	v_ashrrev_i32_e32 v7, 31, v6
	;; [unrolled: 1-line block ×4, first 2 shown]
	v_lshlrev_b64 v[3:4], 3, v[4:5]
	v_lshlrev_b64 v[5:6], 3, v[6:7]
	;; [unrolled: 1-line block ×4, first 2 shown]
	v_add_co_u32 v3, s0, s5, v3
	v_add_co_ci_u32_e64 v4, null, s25, v4, s0
	v_add_co_u32 v5, s0, s27, v5
	v_add_co_ci_u32_e64 v6, null, s29, v6, s0
	;; [unrolled: 2-line block ×5, first 2 shown]
	s_branch .LBB34_14
.LBB34_13:                              ;   in Loop: Header=BB34_14 Depth=2
	s_or_b32 exec_lo, exec_lo, s1
	s_waitcnt vmcnt(0)
	v_fma_f64 v[1:2], v[5:6], v[7:8], v[1:2]
	v_cmp_le_i32_e64 s0, s22, v22
	v_add_co_u32 v3, s1, 0x100, v3
	v_add_co_ci_u32_e64 v4, null, 0, v4, s1
	s_or_b32 s37, s0, s37
	s_andn2_b32 exec_lo, exec_lo, s37
	s_cbranch_execz .LBB34_3
.LBB34_14:                              ;   Parent Loop BB34_6 Depth=1
                                        ; =>  This Loop Header: Depth=2
                                        ;       Child Loop BB34_20 Depth 3
	global_load_dwordx2 v[5:6], v[3:4], off
	v_mad_u64_u32 v[9:10], null, v21, s13, s[6:7]
	v_mov_b32_e32 v7, 0
	v_mov_b32_e32 v8, 0
	s_mov_b32 s38, exec_lo
	v_cmpx_lt_i32_e32 -1, v9
	s_cbranch_execz .LBB34_18
; %bb.15:                               ;   in Loop: Header=BB34_14 Depth=2
	v_mad_u64_u32 v[10:11], null, v22, s12, s[14:15]
	v_cmp_gt_i32_e64 s0, s19, v9
	v_mov_b32_e32 v7, 0
	v_mov_b32_e32 v8, 0
	v_cmp_gt_i32_e64 s1, s18, v10
	v_cmp_lt_i32_e64 s2, -1, v10
	s_and_b32 s0, s0, s1
	s_and_b32 s0, s0, s2
	s_and_saveexec_b32 s1, s0
	s_cbranch_execz .LBB34_17
; %bb.16:                               ;   in Loop: Header=BB34_14 Depth=2
	v_mad_u64_u32 v[7:8], null, v10, s19, v[9:10]
	v_mov_b32_e32 v8, v15
	v_lshlrev_b64 v[7:8], 3, v[7:8]
	v_add_co_u32 v7, s0, v19, v7
	v_add_co_ci_u32_e64 v8, null, v20, v8, s0
	global_load_dwordx2 v[7:8], v[7:8], off
.LBB34_17:                              ;   in Loop: Header=BB34_14 Depth=2
	s_or_b32 exec_lo, exec_lo, s1
.LBB34_18:                              ;   in Loop: Header=BB34_14 Depth=2
	s_or_b32 exec_lo, exec_lo, s38
	v_add_nc_u32_e32 v21, 32, v21
	s_mov_b32 s1, exec_lo
	v_cmpx_le_i32_e64 s23, v21
	s_cbranch_execz .LBB34_13
; %bb.19:                               ;   in Loop: Header=BB34_14 Depth=2
	s_mov_b32 s2, 0
.LBB34_20:                              ;   Parent Loop BB34_6 Depth=1
                                        ;     Parent Loop BB34_14 Depth=2
                                        ; =>    This Inner Loop Header: Depth=3
	v_subrev_nc_u32_e32 v21, s23, v21
	v_add_nc_u32_e32 v22, 1, v22
	v_cmp_gt_i32_e64 s0, s23, v21
	s_or_b32 s2, s0, s2
	s_andn2_b32 exec_lo, exec_lo, s2
	s_cbranch_execnz .LBB34_20
; %bb.21:                               ;   in Loop: Header=BB34_14 Depth=2
	s_or_b32 exec_lo, exec_lo, s2
	s_branch .LBB34_13
.LBB34_22:
	s_or_b32 exec_lo, exec_lo, s31
.LBB34_23:
	s_or_b32 exec_lo, exec_lo, s42
	v_lshl_add_u32 v3, v0, 3, 0
	s_bcnt1_i32_b32 s0, s40
	s_cmp_lg_u32 s0, 1
	s_mov_b32 s0, -1
	ds_write_b64 v3, v[1:2]
	s_waitcnt lgkmcnt(0)
	s_barrier
	buffer_gl0_inv
	s_cbranch_scc1 .LBB34_32
; %bb.24:
	s_andn2_b32 vcc_lo, exec_lo, s0
	s_cbranch_vccnz .LBB34_28
.LBB34_25:
	s_cmp_lt_u32 s40, 2
	s_cbranch_scc0 .LBB34_30
.LBB34_26:
	s_mov_b32 s0, exec_lo
	v_cmpx_eq_u32_e32 0, v0
	s_cbranch_execz .LBB34_28
; %bb.27:
	s_mul_i32 s0, s3, s7
	v_mov_b32_e32 v2, 0
	s_ashr_i32 s1, s0, 31
	s_mul_i32 s2, s8, s33
	s_lshl_b64 s[0:1], s[0:1], 3
	ds_read_b64 v[0:1], v2
	s_add_u32 s4, s34, s0
	s_addc_u32 s5, s35, s1
	s_ashr_i32 s3, s2, 31
	s_lshl_b64 s[0:1], s[2:3], 3
	s_mul_i32 s2, s9, s20
	s_add_u32 s4, s4, s0
	s_addc_u32 s5, s5, s1
	s_ashr_i32 s3, s2, 31
	s_lshl_b64 s[0:1], s[2:3], 3
	s_add_u32 s2, s4, s0
	s_mul_i32 s0, s10, s16
	s_addc_u32 s3, s5, s1
	s_ashr_i32 s1, s0, 31
	s_lshl_b64 s[0:1], s[0:1], 3
	s_add_u32 s0, s2, s0
	s_addc_u32 s1, s3, s1
	s_waitcnt lgkmcnt(0)
	global_store_dwordx2 v2, v[0:1], s[0:1]
.LBB34_28:
	s_endpgm
	.p2align	6
.LBB34_29:                              ;   in Loop: Header=BB34_30 Depth=1
	s_or_b32 exec_lo, exec_lo, s1
	s_cmp_lt_u32 s40, 4
	s_mov_b32 s40, s0
	s_waitcnt lgkmcnt(0)
	s_barrier
	buffer_gl0_inv
	s_cbranch_scc1 .LBB34_26
.LBB34_30:                              ; =>This Inner Loop Header: Depth=1
	s_lshr_b32 s0, s40, 1
	s_mov_b32 s1, exec_lo
	v_cmpx_gt_u32_e64 s0, v0
	s_cbranch_execz .LBB34_29
; %bb.31:                               ;   in Loop: Header=BB34_30 Depth=1
	v_lshl_add_u32 v1, s0, 3, v3
	ds_read_b64 v[1:2], v1
	ds_read_b64 v[4:5], v3
	s_waitcnt lgkmcnt(0)
	v_add_f64 v[1:2], v[1:2], v[4:5]
	ds_write_b64 v3, v[1:2]
	s_branch .LBB34_29
.LBB34_32:
	s_trap 2
	; divergent unreachable
	s_cbranch_execz .LBB34_25
	s_branch .LBB34_28
	.section	.rodata,"a",@progbits
	.p2align	6, 0x0
	.amdhsa_kernel _ZN2at6native12_GLOBAL__N_144conv_depthwise3d_cuda_backward_weight_kernelIddLin1ELin1EEEvN5torch10headeronly6detail27GenericPackedTensorAccessorINS5_14TensorAccessorIN3c108ArrayRefIlEEKT_Lm4ENS4_16DefaultPtrTraitsEiEENS_6detail16IndexBoundsCheckILm5EiEESC_Lm5ESD_iEESI_NS6_INS7_ISA_SB_Lm4ESD_iEESH_SB_Lm5ESD_iEEiiiiiiiii
		.amdhsa_group_segment_fixed_size 0
		.amdhsa_private_segment_fixed_size 0
		.amdhsa_kernarg_size 440
		.amdhsa_user_sgpr_count 6
		.amdhsa_user_sgpr_private_segment_buffer 1
		.amdhsa_user_sgpr_dispatch_ptr 0
		.amdhsa_user_sgpr_queue_ptr 0
		.amdhsa_user_sgpr_kernarg_segment_ptr 1
		.amdhsa_user_sgpr_dispatch_id 0
		.amdhsa_user_sgpr_flat_scratch_init 0
		.amdhsa_user_sgpr_private_segment_size 0
		.amdhsa_wavefront_size32 1
		.amdhsa_uses_dynamic_stack 0
		.amdhsa_system_sgpr_private_segment_wavefront_offset 0
		.amdhsa_system_sgpr_workgroup_id_x 1
		.amdhsa_system_sgpr_workgroup_id_y 0
		.amdhsa_system_sgpr_workgroup_id_z 0
		.amdhsa_system_sgpr_workgroup_info 0
		.amdhsa_system_vgpr_workitem_id 0
		.amdhsa_next_free_vgpr 23
		.amdhsa_next_free_sgpr 49
		.amdhsa_reserve_vcc 1
		.amdhsa_reserve_flat_scratch 0
		.amdhsa_float_round_mode_32 0
		.amdhsa_float_round_mode_16_64 0
		.amdhsa_float_denorm_mode_32 3
		.amdhsa_float_denorm_mode_16_64 3
		.amdhsa_dx10_clamp 1
		.amdhsa_ieee_mode 1
		.amdhsa_fp16_overflow 0
		.amdhsa_workgroup_processor_mode 1
		.amdhsa_memory_ordered 1
		.amdhsa_forward_progress 1
		.amdhsa_shared_vgpr_count 0
		.amdhsa_exception_fp_ieee_invalid_op 0
		.amdhsa_exception_fp_denorm_src 0
		.amdhsa_exception_fp_ieee_div_zero 0
		.amdhsa_exception_fp_ieee_overflow 0
		.amdhsa_exception_fp_ieee_underflow 0
		.amdhsa_exception_fp_ieee_inexact 0
		.amdhsa_exception_int_div_zero 0
	.end_amdhsa_kernel
	.section	.text._ZN2at6native12_GLOBAL__N_144conv_depthwise3d_cuda_backward_weight_kernelIddLin1ELin1EEEvN5torch10headeronly6detail27GenericPackedTensorAccessorINS5_14TensorAccessorIN3c108ArrayRefIlEEKT_Lm4ENS4_16DefaultPtrTraitsEiEENS_6detail16IndexBoundsCheckILm5EiEESC_Lm5ESD_iEESI_NS6_INS7_ISA_SB_Lm4ESD_iEESH_SB_Lm5ESD_iEEiiiiiiiii,"axG",@progbits,_ZN2at6native12_GLOBAL__N_144conv_depthwise3d_cuda_backward_weight_kernelIddLin1ELin1EEEvN5torch10headeronly6detail27GenericPackedTensorAccessorINS5_14TensorAccessorIN3c108ArrayRefIlEEKT_Lm4ENS4_16DefaultPtrTraitsEiEENS_6detail16IndexBoundsCheckILm5EiEESC_Lm5ESD_iEESI_NS6_INS7_ISA_SB_Lm4ESD_iEESH_SB_Lm5ESD_iEEiiiiiiiii,comdat
.Lfunc_end34:
	.size	_ZN2at6native12_GLOBAL__N_144conv_depthwise3d_cuda_backward_weight_kernelIddLin1ELin1EEEvN5torch10headeronly6detail27GenericPackedTensorAccessorINS5_14TensorAccessorIN3c108ArrayRefIlEEKT_Lm4ENS4_16DefaultPtrTraitsEiEENS_6detail16IndexBoundsCheckILm5EiEESC_Lm5ESD_iEESI_NS6_INS7_ISA_SB_Lm4ESD_iEESH_SB_Lm5ESD_iEEiiiiiiiii, .Lfunc_end34-_ZN2at6native12_GLOBAL__N_144conv_depthwise3d_cuda_backward_weight_kernelIddLin1ELin1EEEvN5torch10headeronly6detail27GenericPackedTensorAccessorINS5_14TensorAccessorIN3c108ArrayRefIlEEKT_Lm4ENS4_16DefaultPtrTraitsEiEENS_6detail16IndexBoundsCheckILm5EiEESC_Lm5ESD_iEESI_NS6_INS7_ISA_SB_Lm4ESD_iEESH_SB_Lm5ESD_iEEiiiiiiiii
                                        ; -- End function
	.set _ZN2at6native12_GLOBAL__N_144conv_depthwise3d_cuda_backward_weight_kernelIddLin1ELin1EEEvN5torch10headeronly6detail27GenericPackedTensorAccessorINS5_14TensorAccessorIN3c108ArrayRefIlEEKT_Lm4ENS4_16DefaultPtrTraitsEiEENS_6detail16IndexBoundsCheckILm5EiEESC_Lm5ESD_iEESI_NS6_INS7_ISA_SB_Lm4ESD_iEESH_SB_Lm5ESD_iEEiiiiiiiii.num_vgpr, 23
	.set _ZN2at6native12_GLOBAL__N_144conv_depthwise3d_cuda_backward_weight_kernelIddLin1ELin1EEEvN5torch10headeronly6detail27GenericPackedTensorAccessorINS5_14TensorAccessorIN3c108ArrayRefIlEEKT_Lm4ENS4_16DefaultPtrTraitsEiEENS_6detail16IndexBoundsCheckILm5EiEESC_Lm5ESD_iEESI_NS6_INS7_ISA_SB_Lm4ESD_iEESH_SB_Lm5ESD_iEEiiiiiiiii.num_agpr, 0
	.set _ZN2at6native12_GLOBAL__N_144conv_depthwise3d_cuda_backward_weight_kernelIddLin1ELin1EEEvN5torch10headeronly6detail27GenericPackedTensorAccessorINS5_14TensorAccessorIN3c108ArrayRefIlEEKT_Lm4ENS4_16DefaultPtrTraitsEiEENS_6detail16IndexBoundsCheckILm5EiEESC_Lm5ESD_iEESI_NS6_INS7_ISA_SB_Lm4ESD_iEESH_SB_Lm5ESD_iEEiiiiiiiii.numbered_sgpr, 49
	.set _ZN2at6native12_GLOBAL__N_144conv_depthwise3d_cuda_backward_weight_kernelIddLin1ELin1EEEvN5torch10headeronly6detail27GenericPackedTensorAccessorINS5_14TensorAccessorIN3c108ArrayRefIlEEKT_Lm4ENS4_16DefaultPtrTraitsEiEENS_6detail16IndexBoundsCheckILm5EiEESC_Lm5ESD_iEESI_NS6_INS7_ISA_SB_Lm4ESD_iEESH_SB_Lm5ESD_iEEiiiiiiiii.num_named_barrier, 0
	.set _ZN2at6native12_GLOBAL__N_144conv_depthwise3d_cuda_backward_weight_kernelIddLin1ELin1EEEvN5torch10headeronly6detail27GenericPackedTensorAccessorINS5_14TensorAccessorIN3c108ArrayRefIlEEKT_Lm4ENS4_16DefaultPtrTraitsEiEENS_6detail16IndexBoundsCheckILm5EiEESC_Lm5ESD_iEESI_NS6_INS7_ISA_SB_Lm4ESD_iEESH_SB_Lm5ESD_iEEiiiiiiiii.private_seg_size, 0
	.set _ZN2at6native12_GLOBAL__N_144conv_depthwise3d_cuda_backward_weight_kernelIddLin1ELin1EEEvN5torch10headeronly6detail27GenericPackedTensorAccessorINS5_14TensorAccessorIN3c108ArrayRefIlEEKT_Lm4ENS4_16DefaultPtrTraitsEiEENS_6detail16IndexBoundsCheckILm5EiEESC_Lm5ESD_iEESI_NS6_INS7_ISA_SB_Lm4ESD_iEESH_SB_Lm5ESD_iEEiiiiiiiii.uses_vcc, 1
	.set _ZN2at6native12_GLOBAL__N_144conv_depthwise3d_cuda_backward_weight_kernelIddLin1ELin1EEEvN5torch10headeronly6detail27GenericPackedTensorAccessorINS5_14TensorAccessorIN3c108ArrayRefIlEEKT_Lm4ENS4_16DefaultPtrTraitsEiEENS_6detail16IndexBoundsCheckILm5EiEESC_Lm5ESD_iEESI_NS6_INS7_ISA_SB_Lm4ESD_iEESH_SB_Lm5ESD_iEEiiiiiiiii.uses_flat_scratch, 0
	.set _ZN2at6native12_GLOBAL__N_144conv_depthwise3d_cuda_backward_weight_kernelIddLin1ELin1EEEvN5torch10headeronly6detail27GenericPackedTensorAccessorINS5_14TensorAccessorIN3c108ArrayRefIlEEKT_Lm4ENS4_16DefaultPtrTraitsEiEENS_6detail16IndexBoundsCheckILm5EiEESC_Lm5ESD_iEESI_NS6_INS7_ISA_SB_Lm4ESD_iEESH_SB_Lm5ESD_iEEiiiiiiiii.has_dyn_sized_stack, 0
	.set _ZN2at6native12_GLOBAL__N_144conv_depthwise3d_cuda_backward_weight_kernelIddLin1ELin1EEEvN5torch10headeronly6detail27GenericPackedTensorAccessorINS5_14TensorAccessorIN3c108ArrayRefIlEEKT_Lm4ENS4_16DefaultPtrTraitsEiEENS_6detail16IndexBoundsCheckILm5EiEESC_Lm5ESD_iEESI_NS6_INS7_ISA_SB_Lm4ESD_iEESH_SB_Lm5ESD_iEEiiiiiiiii.has_recursion, 0
	.set _ZN2at6native12_GLOBAL__N_144conv_depthwise3d_cuda_backward_weight_kernelIddLin1ELin1EEEvN5torch10headeronly6detail27GenericPackedTensorAccessorINS5_14TensorAccessorIN3c108ArrayRefIlEEKT_Lm4ENS4_16DefaultPtrTraitsEiEENS_6detail16IndexBoundsCheckILm5EiEESC_Lm5ESD_iEESI_NS6_INS7_ISA_SB_Lm4ESD_iEESH_SB_Lm5ESD_iEEiiiiiiiii.has_indirect_call, 0
	.section	.AMDGPU.csdata,"",@progbits
; Kernel info:
; codeLenInByte = 1968
; TotalNumSgprs: 51
; NumVgprs: 23
; ScratchSize: 0
; MemoryBound: 0
; FloatMode: 240
; IeeeMode: 1
; LDSByteSize: 0 bytes/workgroup (compile time only)
; SGPRBlocks: 0
; VGPRBlocks: 2
; NumSGPRsForWavesPerEU: 51
; NumVGPRsForWavesPerEU: 23
; Occupancy: 16
; WaveLimiterHint : 1
; COMPUTE_PGM_RSRC2:SCRATCH_EN: 0
; COMPUTE_PGM_RSRC2:USER_SGPR: 6
; COMPUTE_PGM_RSRC2:TRAP_HANDLER: 0
; COMPUTE_PGM_RSRC2:TGID_X_EN: 1
; COMPUTE_PGM_RSRC2:TGID_Y_EN: 0
; COMPUTE_PGM_RSRC2:TGID_Z_EN: 0
; COMPUTE_PGM_RSRC2:TIDIG_COMP_CNT: 0
	.section	.text._ZN2at6native12_GLOBAL__N_144conv_depthwise3d_cuda_backward_weight_kernelIffLi1ELi1EEEvN5torch10headeronly6detail27GenericPackedTensorAccessorINS5_14TensorAccessorIN3c108ArrayRefIlEEKT_Lm4ENS4_16DefaultPtrTraitsEiEENS_6detail16IndexBoundsCheckILm5EiEESC_Lm5ESD_iEESI_NS6_INS7_ISA_SB_Lm4ESD_iEESH_SB_Lm5ESD_iEEiiiiiiiii,"axG",@progbits,_ZN2at6native12_GLOBAL__N_144conv_depthwise3d_cuda_backward_weight_kernelIffLi1ELi1EEEvN5torch10headeronly6detail27GenericPackedTensorAccessorINS5_14TensorAccessorIN3c108ArrayRefIlEEKT_Lm4ENS4_16DefaultPtrTraitsEiEENS_6detail16IndexBoundsCheckILm5EiEESC_Lm5ESD_iEESI_NS6_INS7_ISA_SB_Lm4ESD_iEESH_SB_Lm5ESD_iEEiiiiiiiii,comdat
	.globl	_ZN2at6native12_GLOBAL__N_144conv_depthwise3d_cuda_backward_weight_kernelIffLi1ELi1EEEvN5torch10headeronly6detail27GenericPackedTensorAccessorINS5_14TensorAccessorIN3c108ArrayRefIlEEKT_Lm4ENS4_16DefaultPtrTraitsEiEENS_6detail16IndexBoundsCheckILm5EiEESC_Lm5ESD_iEESI_NS6_INS7_ISA_SB_Lm4ESD_iEESH_SB_Lm5ESD_iEEiiiiiiiii ; -- Begin function _ZN2at6native12_GLOBAL__N_144conv_depthwise3d_cuda_backward_weight_kernelIffLi1ELi1EEEvN5torch10headeronly6detail27GenericPackedTensorAccessorINS5_14TensorAccessorIN3c108ArrayRefIlEEKT_Lm4ENS4_16DefaultPtrTraitsEiEENS_6detail16IndexBoundsCheckILm5EiEESC_Lm5ESD_iEESI_NS6_INS7_ISA_SB_Lm4ESD_iEESH_SB_Lm5ESD_iEEiiiiiiiii
	.p2align	8
	.type	_ZN2at6native12_GLOBAL__N_144conv_depthwise3d_cuda_backward_weight_kernelIffLi1ELi1EEEvN5torch10headeronly6detail27GenericPackedTensorAccessorINS5_14TensorAccessorIN3c108ArrayRefIlEEKT_Lm4ENS4_16DefaultPtrTraitsEiEENS_6detail16IndexBoundsCheckILm5EiEESC_Lm5ESD_iEESI_NS6_INS7_ISA_SB_Lm4ESD_iEESH_SB_Lm5ESD_iEEiiiiiiiii,@function
_ZN2at6native12_GLOBAL__N_144conv_depthwise3d_cuda_backward_weight_kernelIffLi1ELi1EEEvN5torch10headeronly6detail27GenericPackedTensorAccessorINS5_14TensorAccessorIN3c108ArrayRefIlEEKT_Lm4ENS4_16DefaultPtrTraitsEiEENS_6detail16IndexBoundsCheckILm5EiEESC_Lm5ESD_iEESI_NS6_INS7_ISA_SB_Lm4ESD_iEESH_SB_Lm5ESD_iEEiiiiiiiii: ; @_ZN2at6native12_GLOBAL__N_144conv_depthwise3d_cuda_backward_weight_kernelIffLi1ELi1EEEvN5torch10headeronly6detail27GenericPackedTensorAccessorINS5_14TensorAccessorIN3c108ArrayRefIlEEKT_Lm4ENS4_16DefaultPtrTraitsEiEENS_6detail16IndexBoundsCheckILm5EiEESC_Lm5ESD_iEESI_NS6_INS7_ISA_SB_Lm4ESD_iEESH_SB_Lm5ESD_iEEiiiiiiiii
; %bb.0:
	s_load_dwordx4 s[0:3], s[4:5], 0x70
	s_add_u32 s8, s4, 0x60
	s_addc_u32 s9, s5, 0
	s_waitcnt lgkmcnt(0)
	v_cvt_f32_u32_e32 v1, s2
	v_cvt_f32_u32_e32 v2, s1
	s_sub_i32 s10, 0, s2
	v_rcp_iflag_f32_e32 v1, v1
	v_rcp_iflag_f32_e32 v2, v2
	v_mul_f32_e32 v1, 0x4f7ffffe, v1
	v_mul_f32_e32 v2, 0x4f7ffffe, v2
	v_cvt_u32_f32_e32 v1, v1
	v_cvt_u32_f32_e32 v2, v2
	v_readfirstlane_b32 s7, v1
	v_cvt_f32_u32_e32 v1, s0
	v_readfirstlane_b32 s13, v2
	s_mul_i32 s10, s10, s7
	v_rcp_iflag_f32_e32 v1, v1
	s_mul_hi_u32 s10, s7, s10
	s_add_i32 s7, s7, s10
	s_mul_hi_u32 s7, s6, s7
	s_mul_i32 s10, s7, s2
	s_add_i32 s11, s7, 1
	s_sub_i32 s10, s6, s10
	v_mul_f32_e32 v1, 0x4f7ffffe, v1
	s_sub_i32 s12, s10, s2
	s_cmp_ge_u32 s10, s2
	s_cselect_b32 s7, s11, s7
	s_cselect_b32 s10, s12, s10
	s_add_i32 s11, s7, 1
	s_cmp_ge_u32 s10, s2
	v_cvt_u32_f32_e32 v1, v1
	s_cselect_b32 s20, s11, s7
	s_sub_i32 s7, 0, s1
	s_mul_i32 s7, s7, s13
	v_readfirstlane_b32 s16, v1
	s_mul_hi_u32 s7, s13, s7
	s_add_i32 s13, s13, s7
	s_mul_hi_u32 s7, s20, s13
	s_mul_i32 s10, s7, s1
	s_add_i32 s11, s7, 1
	s_sub_i32 s10, s20, s10
	s_sub_i32 s12, s10, s1
	s_cmp_ge_u32 s10, s1
	s_cselect_b32 s7, s11, s7
	s_cselect_b32 s10, s12, s10
	s_add_i32 s11, s7, 1
	s_cmp_ge_u32 s10, s1
	s_load_dwordx4 s[12:15], s[4:5], 0x3c
	s_cselect_b32 s21, s11, s7
	s_sub_i32 s7, 0, s0
	s_mul_i32 s7, s7, s16
	s_mul_hi_u32 s7, s16, s7
	s_add_i32 s16, s16, s7
	s_mul_hi_u32 s7, s21, s16
	s_mul_i32 s10, s7, s0
	s_add_i32 s11, s7, 1
	s_sub_i32 s10, s21, s10
	s_sub_i32 s16, s10, s0
	s_cmp_ge_u32 s10, s0
	s_cselect_b32 s7, s11, s7
	s_cselect_b32 s10, s16, s10
	s_add_i32 s11, s7, 1
	s_cmp_ge_u32 s10, s0
	s_load_dwordx4 s[16:19], s[4:5], 0xc
	s_cselect_b32 s7, s11, s7
	s_waitcnt lgkmcnt(0)
	s_abs_i32 s10, s12
	v_cvt_f32_u32_e32 v1, s10
	s_sub_i32 s22, 0, s10
	v_rcp_iflag_f32_e32 v1, v1
	v_mul_f32_e32 v1, 0x4f7ffffe, v1
	s_abs_i32 s23, s16
	s_xor_b32 s12, s16, s12
	s_ashr_i32 s12, s12, 31
	v_cvt_u32_f32_e32 v1, v1
	v_readfirstlane_b32 s11, v1
	s_mul_i32 s22, s22, s11
	s_mul_hi_u32 s22, s11, s22
	s_add_i32 s11, s11, s22
	s_mul_hi_u32 s11, s23, s11
	s_mul_i32 s16, s11, s10
	s_add_i32 s22, s11, 1
	s_sub_i32 s16, s23, s16
	s_sub_i32 s23, s16, s10
	s_cmp_ge_u32 s16, s10
	s_cselect_b32 s11, s22, s11
	s_cselect_b32 s16, s23, s16
	s_add_i32 s22, s11, 1
	s_cmp_ge_u32 s16, s10
	s_cselect_b32 s10, s22, s11
	s_xor_b32 s10, s10, s12
	s_sub_i32 s22, s10, s12
	s_load_dword s10, s[4:5], 0x68
	s_abs_i32 s39, s22
	v_cvt_f32_u32_e32 v1, s39
	v_rcp_iflag_f32_e32 v1, v1
	v_mul_f32_e32 v1, 0x4f7ffffe, v1
	s_waitcnt lgkmcnt(0)
	s_cmp_ge_i32 s7, s10
	v_cvt_u32_f32_e32 v1, v1
	v_readfirstlane_b32 s23, v1
	s_cbranch_scc1 .LBB35_28
; %bb.1:
	s_clause 0x1
	s_load_dword s36, s[4:5], 0x38
	s_load_dword s24, s[4:5], 0xc4
	s_clause 0x1
	s_load_dwordx2 s[34:35], s[8:9], 0x0
	s_load_dwordx4 s[8:11], s[8:9], 0x24
	v_lshrrev_b32_e32 v4, 5, v0
	v_mov_b32_e32 v5, 0
	s_mul_i32 s2, s20, s2
	s_mul_i32 s1, s21, s1
	;; [unrolled: 1-line block ×3, first 2 shown]
	s_sub_i32 s6, s6, s2
	s_sub_i32 s12, s20, s1
	;; [unrolled: 1-line block ×3, first 2 shown]
	s_mov_b32 s37, exec_lo
	s_waitcnt lgkmcnt(0)
	s_mul_i32 s36, s36, s17
	s_and_b32 s33, s24, 0xffff
	v_cmpx_gt_i32_e64 s36, v4
	s_cbranch_execz .LBB35_23
; %bb.2:
	s_sub_i32 s0, 0, s39
	s_abs_i32 s25, s7
	s_mul_i32 s0, s0, s23
	s_ashr_i32 s24, s22, 31
	s_mul_hi_u32 s0, s23, s0
	s_ashr_i32 s2, s7, 31
	s_add_i32 s23, s23, s0
	s_xor_b32 s2, s2, s24
	s_mul_hi_u32 s40, s25, s23
	s_clause 0x2
	s_load_dwordx4 s[28:31], s[4:5], 0x9c
	s_load_dwordx2 s[0:1], s[4:5], 0x0
	s_load_dwordx4 s[20:23], s[4:5], 0x1c
	s_waitcnt lgkmcnt(0)
	s_mul_i32 s23, s40, s39
	s_lshr_b32 s38, s33, 5
	s_sub_i32 s23, s25, s23
	s_load_dwordx4 s[24:27], s[4:5], 0x4c
	s_add_i32 s41, s40, 1
	s_sub_i32 s42, s23, s39
	s_cmp_ge_u32 s23, s39
	s_waitcnt lgkmcnt(0)
	s_cselect_b32 s27, s41, s40
	s_load_dwordx2 s[40:41], s[4:5], 0x30
	s_cselect_b32 s23, s42, s23
	s_add_i32 s42, s27, 1
	s_cmp_ge_u32 s23, s39
	s_cselect_b32 s23, s42, s27
	s_load_dwordx2 s[42:43], s[4:5], 0xac
	s_xor_b32 s23, s23, s2
	s_abs_i32 s39, s17
	s_sub_i32 s2, s23, s2
	s_mul_i32 s4, s21, s7
	s_mul_i32 s21, s16, s31
	s_ashr_i32 s5, s4, 31
	s_ashr_i32 s27, s17, 31
	s_lshl_b64 s[44:45], s[4:5], 2
	s_sub_i32 s46, 0, s39
	s_sub_i32 s4, s21, s28
	v_cvt_f32_u32_e32 v1, s39
	s_add_u32 s5, s0, s44
	s_mul_i32 s0, s25, s2
	s_addc_u32 s21, s1, s45
	s_ashr_i32 s1, s0, 31
	v_rcp_iflag_f32_e32 v1, v1
	s_lshl_b64 s[0:1], s[0:1], 2
	s_waitcnt lgkmcnt(0)
	s_add_u32 s23, s40, s0
	s_addc_u32 s25, s41, s1
	s_abs_i32 s1, s19
	v_cvt_f32_u32_e32 v2, s1
	s_sub_i32 s0, 0, s1
	v_mul_f32_e32 v1, 0x4f7ffffe, v1
	v_rcp_iflag_f32_e32 v2, v2
	v_cvt_u32_f32_e32 v1, v1
	v_mul_lo_u32 v3, s46, v1
	v_mul_f32_e32 v2, 0x4f7ffffe, v2
	v_cvt_u32_f32_e32 v2, v2
	v_mul_hi_u32 v3, v1, v3
	v_mul_lo_u32 v5, s0, v2
	v_add_nc_u32_e32 v1, v1, v3
	v_and_b32_e32 v3, 31, v0
	v_mul_hi_u32 v5, v2, v5
	v_mul_hi_u32 v1, v4, v1
	v_add_nc_u32_e32 v2, v2, v5
	v_mul_lo_u32 v5, v1, s39
	v_add_nc_u32_e32 v7, 1, v1
	v_mul_hi_u32 v2, v3, v2
	v_sub_nc_u32_e32 v5, v4, v5
	v_mul_lo_u32 v6, v2, s1
	v_cmp_le_u32_e32 vcc_lo, s39, v5
	v_add_nc_u32_e32 v8, 1, v2
	v_cndmask_b32_e32 v1, v1, v7, vcc_lo
	v_subrev_nc_u32_e32 v7, s39, v5
	v_sub_nc_u32_e32 v6, v3, v6
	v_cndmask_b32_e32 v5, v5, v7, vcc_lo
	v_subrev_nc_u32_e32 v9, s1, v6
	v_cmp_le_u32_e64 s0, s1, v6
	v_add_nc_u32_e32 v7, 1, v1
	v_cmp_le_u32_e32 vcc_lo, s39, v5
	v_mov_b32_e32 v5, 0
	v_cndmask_b32_e64 v2, v2, v8, s0
	v_cndmask_b32_e64 v6, v6, v9, s0
	s_ashr_i32 s0, s19, 31
	v_cndmask_b32_e32 v1, v1, v7, vcc_lo
	v_lshlrev_b32_e32 v9, 2, v3
	v_add_nc_u32_e32 v8, 1, v2
	v_cmp_le_u32_e32 vcc_lo, s1, v6
	s_mul_i32 s1, s12, s42
	v_xor_b32_e32 v1, s27, v1
	s_sub_i32 s29, s1, s29
	v_cndmask_b32_e32 v2, v2, v8, vcc_lo
	v_mov_b32_e32 v8, 0
	v_subrev_nc_u32_e32 v6, s27, v1
	s_mov_b32 s27, 0
	v_xor_b32_e32 v2, s0, v2
	v_mul_lo_u32 v1, v6, s17
	v_subrev_nc_u32_e32 v7, s0, v2
	s_mul_i32 s0, s6, s43
	s_sub_i32 s28, s0, s30
	v_mul_lo_u32 v2, v7, s19
	v_sub_nc_u32_e32 v10, v4, v1
	v_cmp_gt_i32_e32 vcc_lo, s18, v7
	v_sub_nc_u32_e32 v11, v3, v2
	s_branch .LBB35_6
.LBB35_3:                               ;   in Loop: Header=BB35_6 Depth=1
	s_or_b32 exec_lo, exec_lo, s39
.LBB35_4:                               ;   in Loop: Header=BB35_6 Depth=1
	s_or_b32 exec_lo, exec_lo, s31
.LBB35_5:                               ;   in Loop: Header=BB35_6 Depth=1
	s_or_b32 exec_lo, exec_lo, s30
	v_add_nc_u32_e32 v4, s38, v4
	v_add_nc_u32_e32 v10, s38, v10
	v_cmp_le_i32_e64 s0, s36, v4
	s_or_b32 s27, s0, s27
	s_andn2_b32 exec_lo, exec_lo, s27
	s_cbranch_execz .LBB35_22
.LBB35_6:                               ; =>This Loop Header: Depth=1
                                        ;     Child Loop BB35_8 Depth 2
                                        ;     Child Loop BB35_14 Depth 2
                                        ;       Child Loop BB35_20 Depth 3
	s_mov_b32 s1, exec_lo
	v_cmpx_le_i32_e64 s17, v10
	s_cbranch_execz .LBB35_10
; %bb.7:                                ;   in Loop: Header=BB35_6 Depth=1
	s_mov_b32 s2, 0
.LBB35_8:                               ;   Parent Loop BB35_6 Depth=1
                                        ; =>  This Inner Loop Header: Depth=2
	v_subrev_nc_u32_e32 v10, s17, v10
	v_add_nc_u32_e32 v6, 1, v6
	v_cmp_gt_i32_e64 s0, s17, v10
	s_or_b32 s2, s0, s2
	s_andn2_b32 exec_lo, exec_lo, s2
	s_cbranch_execnz .LBB35_8
; %bb.9:                                ;   in Loop: Header=BB35_6 Depth=1
	s_or_b32 exec_lo, exec_lo, s2
.LBB35_10:                              ;   in Loop: Header=BB35_6 Depth=1
	s_or_b32 exec_lo, exec_lo, s1
	v_mad_u64_u32 v[1:2], null, v10, s11, s[4:5]
	v_cmp_lt_i32_e64 s0, -1, v1
	v_cmp_gt_i32_e64 s1, s13, v1
	s_and_b32 s0, s0, s1
	s_and_saveexec_b32 s30, s0
	s_cbranch_execz .LBB35_5
; %bb.11:                               ;   in Loop: Header=BB35_6 Depth=1
	s_and_saveexec_b32 s31, vcc_lo
	s_cbranch_execz .LBB35_4
; %bb.12:                               ;   in Loop: Header=BB35_6 Depth=1
	v_mul_lo_u32 v2, s20, v6
	v_mul_lo_u32 v12, s24, v6
	;; [unrolled: 1-line block ×4, first 2 shown]
	s_mov_b32 s39, 0
	v_ashrrev_i32_e32 v3, 31, v2
	v_ashrrev_i32_e32 v13, 31, v12
	;; [unrolled: 1-line block ×4, first 2 shown]
	v_lshlrev_b64 v[1:2], 2, v[2:3]
	v_lshlrev_b64 v[12:13], 2, v[12:13]
	;; [unrolled: 1-line block ×4, first 2 shown]
	v_add_co_u32 v1, s0, s5, v1
	v_add_co_ci_u32_e64 v2, null, s21, v2, s0
	v_add_co_u32 v3, s0, s23, v12
	v_add_co_ci_u32_e64 v13, null, s25, v13, s0
	;; [unrolled: 2-line block ×5, first 2 shown]
	v_mov_b32_e32 v14, v11
	v_mov_b32_e32 v15, v7
	s_branch .LBB35_14
.LBB35_13:                              ;   in Loop: Header=BB35_14 Depth=2
	s_or_b32 exec_lo, exec_lo, s1
	v_cmp_le_i32_e64 s0, s18, v15
	v_add_co_u32 v1, s1, 0x80, v1
	v_add_co_ci_u32_e64 v2, null, 0, v2, s1
	s_waitcnt vmcnt(0)
	v_fmac_f32_e32 v5, v16, v17
	s_or_b32 s39, s0, s39
	s_andn2_b32 exec_lo, exec_lo, s39
	s_cbranch_execz .LBB35_3
.LBB35_14:                              ;   Parent Loop BB35_6 Depth=1
                                        ; =>  This Loop Header: Depth=2
                                        ;       Child Loop BB35_20 Depth 3
	global_load_dword v16, v[1:2], off
	v_add_nc_u32_e32 v3, s28, v14
	v_mov_b32_e32 v17, 0
	s_mov_b32 s40, exec_lo
	v_cmpx_lt_i32_e32 -1, v3
	s_cbranch_execz .LBB35_18
; %bb.15:                               ;   in Loop: Header=BB35_14 Depth=2
	v_add_nc_u32_e32 v18, s29, v15
	v_cmp_gt_i32_e64 s0, s15, v3
	v_mov_b32_e32 v17, 0
	v_cmp_gt_i32_e64 s1, s14, v18
	v_cmp_lt_i32_e64 s2, -1, v18
	s_and_b32 s0, s0, s1
	s_and_b32 s0, s0, s2
	s_and_saveexec_b32 s1, s0
	s_cbranch_execz .LBB35_17
; %bb.16:                               ;   in Loop: Header=BB35_14 Depth=2
	v_mad_u64_u32 v[17:18], null, v18, s15, v[3:4]
	v_mov_b32_e32 v18, v8
	v_lshlrev_b64 v[17:18], 2, v[17:18]
	v_add_co_u32 v17, s0, v12, v17
	v_add_co_ci_u32_e64 v18, null, v13, v18, s0
	global_load_dword v17, v[17:18], off
.LBB35_17:                              ;   in Loop: Header=BB35_14 Depth=2
	s_or_b32 exec_lo, exec_lo, s1
.LBB35_18:                              ;   in Loop: Header=BB35_14 Depth=2
	s_or_b32 exec_lo, exec_lo, s40
	v_add_nc_u32_e32 v14, 32, v14
	s_mov_b32 s1, exec_lo
	v_cmpx_le_i32_e64 s19, v14
	s_cbranch_execz .LBB35_13
; %bb.19:                               ;   in Loop: Header=BB35_14 Depth=2
	s_mov_b32 s2, 0
.LBB35_20:                              ;   Parent Loop BB35_6 Depth=1
                                        ;     Parent Loop BB35_14 Depth=2
                                        ; =>    This Inner Loop Header: Depth=3
	v_subrev_nc_u32_e32 v14, s19, v14
	v_add_nc_u32_e32 v15, 1, v15
	v_cmp_gt_i32_e64 s0, s19, v14
	s_or_b32 s2, s0, s2
	s_andn2_b32 exec_lo, exec_lo, s2
	s_cbranch_execnz .LBB35_20
; %bb.21:                               ;   in Loop: Header=BB35_14 Depth=2
	s_or_b32 exec_lo, exec_lo, s2
	s_branch .LBB35_13
.LBB35_22:
	s_or_b32 exec_lo, exec_lo, s27
.LBB35_23:
	s_or_b32 exec_lo, exec_lo, s37
	v_lshl_add_u32 v1, v0, 2, 0
	s_bcnt1_i32_b32 s0, s33
	s_cmp_lg_u32 s0, 1
	s_mov_b32 s0, -1
	ds_write_b32 v1, v5
	s_waitcnt lgkmcnt(0)
	s_barrier
	buffer_gl0_inv
	s_cbranch_scc1 .LBB35_32
; %bb.24:
	s_andn2_b32 vcc_lo, exec_lo, s0
	s_cbranch_vccnz .LBB35_28
.LBB35_25:
	s_cmp_lt_u32 s33, 2
	s_cbranch_scc0 .LBB35_30
.LBB35_26:
	s_mov_b32 s0, exec_lo
	v_cmpx_eq_u32_e32 0, v0
	s_cbranch_execz .LBB35_28
; %bb.27:
	s_mul_i32 s0, s3, s7
	v_mov_b32_e32 v0, 0
	s_ashr_i32 s1, s0, 31
	s_mul_i32 s2, s8, s16
	s_lshl_b64 s[0:1], s[0:1], 2
	ds_read_b32 v1, v0
	s_add_u32 s4, s34, s0
	s_addc_u32 s5, s35, s1
	s_ashr_i32 s3, s2, 31
	s_lshl_b64 s[0:1], s[2:3], 2
	s_mul_i32 s2, s9, s12
	s_add_u32 s4, s4, s0
	s_addc_u32 s5, s5, s1
	s_ashr_i32 s3, s2, 31
	s_lshl_b64 s[0:1], s[2:3], 2
	s_add_u32 s2, s4, s0
	s_mul_i32 s0, s10, s6
	s_addc_u32 s3, s5, s1
	s_ashr_i32 s1, s0, 31
	s_lshl_b64 s[0:1], s[0:1], 2
	s_add_u32 s0, s2, s0
	s_addc_u32 s1, s3, s1
	s_waitcnt lgkmcnt(0)
	global_store_dword v0, v1, s[0:1]
.LBB35_28:
	s_endpgm
	.p2align	6
.LBB35_29:                              ;   in Loop: Header=BB35_30 Depth=1
	s_or_b32 exec_lo, exec_lo, s1
	s_cmp_lt_u32 s33, 4
	s_mov_b32 s33, s0
	s_waitcnt lgkmcnt(0)
	s_barrier
	buffer_gl0_inv
	s_cbranch_scc1 .LBB35_26
.LBB35_30:                              ; =>This Inner Loop Header: Depth=1
	s_lshr_b32 s0, s33, 1
	s_mov_b32 s1, exec_lo
	v_cmpx_gt_u32_e64 s0, v0
	s_cbranch_execz .LBB35_29
; %bb.31:                               ;   in Loop: Header=BB35_30 Depth=1
	v_lshl_add_u32 v2, s0, 2, v1
	ds_read_b32 v2, v2
	ds_read_b32 v3, v1
	s_waitcnt lgkmcnt(0)
	v_add_f32_e32 v2, v2, v3
	ds_write_b32 v1, v2
	s_branch .LBB35_29
.LBB35_32:
	s_trap 2
	; divergent unreachable
	s_cbranch_execz .LBB35_25
	s_branch .LBB35_28
	.section	.rodata,"a",@progbits
	.p2align	6, 0x0
	.amdhsa_kernel _ZN2at6native12_GLOBAL__N_144conv_depthwise3d_cuda_backward_weight_kernelIffLi1ELi1EEEvN5torch10headeronly6detail27GenericPackedTensorAccessorINS5_14TensorAccessorIN3c108ArrayRefIlEEKT_Lm4ENS4_16DefaultPtrTraitsEiEENS_6detail16IndexBoundsCheckILm5EiEESC_Lm5ESD_iEESI_NS6_INS7_ISA_SB_Lm4ESD_iEESH_SB_Lm5ESD_iEEiiiiiiiii
		.amdhsa_group_segment_fixed_size 0
		.amdhsa_private_segment_fixed_size 0
		.amdhsa_kernarg_size 440
		.amdhsa_user_sgpr_count 6
		.amdhsa_user_sgpr_private_segment_buffer 1
		.amdhsa_user_sgpr_dispatch_ptr 0
		.amdhsa_user_sgpr_queue_ptr 0
		.amdhsa_user_sgpr_kernarg_segment_ptr 1
		.amdhsa_user_sgpr_dispatch_id 0
		.amdhsa_user_sgpr_flat_scratch_init 0
		.amdhsa_user_sgpr_private_segment_size 0
		.amdhsa_wavefront_size32 1
		.amdhsa_uses_dynamic_stack 0
		.amdhsa_system_sgpr_private_segment_wavefront_offset 0
		.amdhsa_system_sgpr_workgroup_id_x 1
		.amdhsa_system_sgpr_workgroup_id_y 0
		.amdhsa_system_sgpr_workgroup_id_z 0
		.amdhsa_system_sgpr_workgroup_info 0
		.amdhsa_system_vgpr_workitem_id 0
		.amdhsa_next_free_vgpr 19
		.amdhsa_next_free_sgpr 47
		.amdhsa_reserve_vcc 1
		.amdhsa_reserve_flat_scratch 0
		.amdhsa_float_round_mode_32 0
		.amdhsa_float_round_mode_16_64 0
		.amdhsa_float_denorm_mode_32 3
		.amdhsa_float_denorm_mode_16_64 3
		.amdhsa_dx10_clamp 1
		.amdhsa_ieee_mode 1
		.amdhsa_fp16_overflow 0
		.amdhsa_workgroup_processor_mode 1
		.amdhsa_memory_ordered 1
		.amdhsa_forward_progress 1
		.amdhsa_shared_vgpr_count 0
		.amdhsa_exception_fp_ieee_invalid_op 0
		.amdhsa_exception_fp_denorm_src 0
		.amdhsa_exception_fp_ieee_div_zero 0
		.amdhsa_exception_fp_ieee_overflow 0
		.amdhsa_exception_fp_ieee_underflow 0
		.amdhsa_exception_fp_ieee_inexact 0
		.amdhsa_exception_int_div_zero 0
	.end_amdhsa_kernel
	.section	.text._ZN2at6native12_GLOBAL__N_144conv_depthwise3d_cuda_backward_weight_kernelIffLi1ELi1EEEvN5torch10headeronly6detail27GenericPackedTensorAccessorINS5_14TensorAccessorIN3c108ArrayRefIlEEKT_Lm4ENS4_16DefaultPtrTraitsEiEENS_6detail16IndexBoundsCheckILm5EiEESC_Lm5ESD_iEESI_NS6_INS7_ISA_SB_Lm4ESD_iEESH_SB_Lm5ESD_iEEiiiiiiiii,"axG",@progbits,_ZN2at6native12_GLOBAL__N_144conv_depthwise3d_cuda_backward_weight_kernelIffLi1ELi1EEEvN5torch10headeronly6detail27GenericPackedTensorAccessorINS5_14TensorAccessorIN3c108ArrayRefIlEEKT_Lm4ENS4_16DefaultPtrTraitsEiEENS_6detail16IndexBoundsCheckILm5EiEESC_Lm5ESD_iEESI_NS6_INS7_ISA_SB_Lm4ESD_iEESH_SB_Lm5ESD_iEEiiiiiiiii,comdat
.Lfunc_end35:
	.size	_ZN2at6native12_GLOBAL__N_144conv_depthwise3d_cuda_backward_weight_kernelIffLi1ELi1EEEvN5torch10headeronly6detail27GenericPackedTensorAccessorINS5_14TensorAccessorIN3c108ArrayRefIlEEKT_Lm4ENS4_16DefaultPtrTraitsEiEENS_6detail16IndexBoundsCheckILm5EiEESC_Lm5ESD_iEESI_NS6_INS7_ISA_SB_Lm4ESD_iEESH_SB_Lm5ESD_iEEiiiiiiiii, .Lfunc_end35-_ZN2at6native12_GLOBAL__N_144conv_depthwise3d_cuda_backward_weight_kernelIffLi1ELi1EEEvN5torch10headeronly6detail27GenericPackedTensorAccessorINS5_14TensorAccessorIN3c108ArrayRefIlEEKT_Lm4ENS4_16DefaultPtrTraitsEiEENS_6detail16IndexBoundsCheckILm5EiEESC_Lm5ESD_iEESI_NS6_INS7_ISA_SB_Lm4ESD_iEESH_SB_Lm5ESD_iEEiiiiiiiii
                                        ; -- End function
	.set _ZN2at6native12_GLOBAL__N_144conv_depthwise3d_cuda_backward_weight_kernelIffLi1ELi1EEEvN5torch10headeronly6detail27GenericPackedTensorAccessorINS5_14TensorAccessorIN3c108ArrayRefIlEEKT_Lm4ENS4_16DefaultPtrTraitsEiEENS_6detail16IndexBoundsCheckILm5EiEESC_Lm5ESD_iEESI_NS6_INS7_ISA_SB_Lm4ESD_iEESH_SB_Lm5ESD_iEEiiiiiiiii.num_vgpr, 19
	.set _ZN2at6native12_GLOBAL__N_144conv_depthwise3d_cuda_backward_weight_kernelIffLi1ELi1EEEvN5torch10headeronly6detail27GenericPackedTensorAccessorINS5_14TensorAccessorIN3c108ArrayRefIlEEKT_Lm4ENS4_16DefaultPtrTraitsEiEENS_6detail16IndexBoundsCheckILm5EiEESC_Lm5ESD_iEESI_NS6_INS7_ISA_SB_Lm4ESD_iEESH_SB_Lm5ESD_iEEiiiiiiiii.num_agpr, 0
	.set _ZN2at6native12_GLOBAL__N_144conv_depthwise3d_cuda_backward_weight_kernelIffLi1ELi1EEEvN5torch10headeronly6detail27GenericPackedTensorAccessorINS5_14TensorAccessorIN3c108ArrayRefIlEEKT_Lm4ENS4_16DefaultPtrTraitsEiEENS_6detail16IndexBoundsCheckILm5EiEESC_Lm5ESD_iEESI_NS6_INS7_ISA_SB_Lm4ESD_iEESH_SB_Lm5ESD_iEEiiiiiiiii.numbered_sgpr, 47
	.set _ZN2at6native12_GLOBAL__N_144conv_depthwise3d_cuda_backward_weight_kernelIffLi1ELi1EEEvN5torch10headeronly6detail27GenericPackedTensorAccessorINS5_14TensorAccessorIN3c108ArrayRefIlEEKT_Lm4ENS4_16DefaultPtrTraitsEiEENS_6detail16IndexBoundsCheckILm5EiEESC_Lm5ESD_iEESI_NS6_INS7_ISA_SB_Lm4ESD_iEESH_SB_Lm5ESD_iEEiiiiiiiii.num_named_barrier, 0
	.set _ZN2at6native12_GLOBAL__N_144conv_depthwise3d_cuda_backward_weight_kernelIffLi1ELi1EEEvN5torch10headeronly6detail27GenericPackedTensorAccessorINS5_14TensorAccessorIN3c108ArrayRefIlEEKT_Lm4ENS4_16DefaultPtrTraitsEiEENS_6detail16IndexBoundsCheckILm5EiEESC_Lm5ESD_iEESI_NS6_INS7_ISA_SB_Lm4ESD_iEESH_SB_Lm5ESD_iEEiiiiiiiii.private_seg_size, 0
	.set _ZN2at6native12_GLOBAL__N_144conv_depthwise3d_cuda_backward_weight_kernelIffLi1ELi1EEEvN5torch10headeronly6detail27GenericPackedTensorAccessorINS5_14TensorAccessorIN3c108ArrayRefIlEEKT_Lm4ENS4_16DefaultPtrTraitsEiEENS_6detail16IndexBoundsCheckILm5EiEESC_Lm5ESD_iEESI_NS6_INS7_ISA_SB_Lm4ESD_iEESH_SB_Lm5ESD_iEEiiiiiiiii.uses_vcc, 1
	.set _ZN2at6native12_GLOBAL__N_144conv_depthwise3d_cuda_backward_weight_kernelIffLi1ELi1EEEvN5torch10headeronly6detail27GenericPackedTensorAccessorINS5_14TensorAccessorIN3c108ArrayRefIlEEKT_Lm4ENS4_16DefaultPtrTraitsEiEENS_6detail16IndexBoundsCheckILm5EiEESC_Lm5ESD_iEESI_NS6_INS7_ISA_SB_Lm4ESD_iEESH_SB_Lm5ESD_iEEiiiiiiiii.uses_flat_scratch, 0
	.set _ZN2at6native12_GLOBAL__N_144conv_depthwise3d_cuda_backward_weight_kernelIffLi1ELi1EEEvN5torch10headeronly6detail27GenericPackedTensorAccessorINS5_14TensorAccessorIN3c108ArrayRefIlEEKT_Lm4ENS4_16DefaultPtrTraitsEiEENS_6detail16IndexBoundsCheckILm5EiEESC_Lm5ESD_iEESI_NS6_INS7_ISA_SB_Lm4ESD_iEESH_SB_Lm5ESD_iEEiiiiiiiii.has_dyn_sized_stack, 0
	.set _ZN2at6native12_GLOBAL__N_144conv_depthwise3d_cuda_backward_weight_kernelIffLi1ELi1EEEvN5torch10headeronly6detail27GenericPackedTensorAccessorINS5_14TensorAccessorIN3c108ArrayRefIlEEKT_Lm4ENS4_16DefaultPtrTraitsEiEENS_6detail16IndexBoundsCheckILm5EiEESC_Lm5ESD_iEESI_NS6_INS7_ISA_SB_Lm4ESD_iEESH_SB_Lm5ESD_iEEiiiiiiiii.has_recursion, 0
	.set _ZN2at6native12_GLOBAL__N_144conv_depthwise3d_cuda_backward_weight_kernelIffLi1ELi1EEEvN5torch10headeronly6detail27GenericPackedTensorAccessorINS5_14TensorAccessorIN3c108ArrayRefIlEEKT_Lm4ENS4_16DefaultPtrTraitsEiEENS_6detail16IndexBoundsCheckILm5EiEESC_Lm5ESD_iEESI_NS6_INS7_ISA_SB_Lm4ESD_iEESH_SB_Lm5ESD_iEEiiiiiiiii.has_indirect_call, 0
	.section	.AMDGPU.csdata,"",@progbits
; Kernel info:
; codeLenInByte = 1964
; TotalNumSgprs: 49
; NumVgprs: 19
; ScratchSize: 0
; MemoryBound: 0
; FloatMode: 240
; IeeeMode: 1
; LDSByteSize: 0 bytes/workgroup (compile time only)
; SGPRBlocks: 0
; VGPRBlocks: 2
; NumSGPRsForWavesPerEU: 49
; NumVGPRsForWavesPerEU: 19
; Occupancy: 16
; WaveLimiterHint : 1
; COMPUTE_PGM_RSRC2:SCRATCH_EN: 0
; COMPUTE_PGM_RSRC2:USER_SGPR: 6
; COMPUTE_PGM_RSRC2:TRAP_HANDLER: 0
; COMPUTE_PGM_RSRC2:TGID_X_EN: 1
; COMPUTE_PGM_RSRC2:TGID_Y_EN: 0
; COMPUTE_PGM_RSRC2:TGID_Z_EN: 0
; COMPUTE_PGM_RSRC2:TIDIG_COMP_CNT: 0
	.section	.text._ZN2at6native12_GLOBAL__N_144conv_depthwise3d_cuda_backward_weight_kernelIffLi2ELi2EEEvN5torch10headeronly6detail27GenericPackedTensorAccessorINS5_14TensorAccessorIN3c108ArrayRefIlEEKT_Lm4ENS4_16DefaultPtrTraitsEiEENS_6detail16IndexBoundsCheckILm5EiEESC_Lm5ESD_iEESI_NS6_INS7_ISA_SB_Lm4ESD_iEESH_SB_Lm5ESD_iEEiiiiiiiii,"axG",@progbits,_ZN2at6native12_GLOBAL__N_144conv_depthwise3d_cuda_backward_weight_kernelIffLi2ELi2EEEvN5torch10headeronly6detail27GenericPackedTensorAccessorINS5_14TensorAccessorIN3c108ArrayRefIlEEKT_Lm4ENS4_16DefaultPtrTraitsEiEENS_6detail16IndexBoundsCheckILm5EiEESC_Lm5ESD_iEESI_NS6_INS7_ISA_SB_Lm4ESD_iEESH_SB_Lm5ESD_iEEiiiiiiiii,comdat
	.globl	_ZN2at6native12_GLOBAL__N_144conv_depthwise3d_cuda_backward_weight_kernelIffLi2ELi2EEEvN5torch10headeronly6detail27GenericPackedTensorAccessorINS5_14TensorAccessorIN3c108ArrayRefIlEEKT_Lm4ENS4_16DefaultPtrTraitsEiEENS_6detail16IndexBoundsCheckILm5EiEESC_Lm5ESD_iEESI_NS6_INS7_ISA_SB_Lm4ESD_iEESH_SB_Lm5ESD_iEEiiiiiiiii ; -- Begin function _ZN2at6native12_GLOBAL__N_144conv_depthwise3d_cuda_backward_weight_kernelIffLi2ELi2EEEvN5torch10headeronly6detail27GenericPackedTensorAccessorINS5_14TensorAccessorIN3c108ArrayRefIlEEKT_Lm4ENS4_16DefaultPtrTraitsEiEENS_6detail16IndexBoundsCheckILm5EiEESC_Lm5ESD_iEESI_NS6_INS7_ISA_SB_Lm4ESD_iEESH_SB_Lm5ESD_iEEiiiiiiiii
	.p2align	8
	.type	_ZN2at6native12_GLOBAL__N_144conv_depthwise3d_cuda_backward_weight_kernelIffLi2ELi2EEEvN5torch10headeronly6detail27GenericPackedTensorAccessorINS5_14TensorAccessorIN3c108ArrayRefIlEEKT_Lm4ENS4_16DefaultPtrTraitsEiEENS_6detail16IndexBoundsCheckILm5EiEESC_Lm5ESD_iEESI_NS6_INS7_ISA_SB_Lm4ESD_iEESH_SB_Lm5ESD_iEEiiiiiiiii,@function
_ZN2at6native12_GLOBAL__N_144conv_depthwise3d_cuda_backward_weight_kernelIffLi2ELi2EEEvN5torch10headeronly6detail27GenericPackedTensorAccessorINS5_14TensorAccessorIN3c108ArrayRefIlEEKT_Lm4ENS4_16DefaultPtrTraitsEiEENS_6detail16IndexBoundsCheckILm5EiEESC_Lm5ESD_iEESI_NS6_INS7_ISA_SB_Lm4ESD_iEESH_SB_Lm5ESD_iEEiiiiiiiii: ; @_ZN2at6native12_GLOBAL__N_144conv_depthwise3d_cuda_backward_weight_kernelIffLi2ELi2EEEvN5torch10headeronly6detail27GenericPackedTensorAccessorINS5_14TensorAccessorIN3c108ArrayRefIlEEKT_Lm4ENS4_16DefaultPtrTraitsEiEENS_6detail16IndexBoundsCheckILm5EiEESC_Lm5ESD_iEESI_NS6_INS7_ISA_SB_Lm4ESD_iEESH_SB_Lm5ESD_iEEiiiiiiiii
; %bb.0:
	s_load_dwordx4 s[0:3], s[4:5], 0x70
	s_add_u32 s8, s4, 0x60
	s_addc_u32 s9, s5, 0
	s_waitcnt lgkmcnt(0)
	v_cvt_f32_u32_e32 v1, s2
	v_cvt_f32_u32_e32 v2, s1
	s_sub_i32 s10, 0, s2
	v_rcp_iflag_f32_e32 v1, v1
	v_rcp_iflag_f32_e32 v2, v2
	v_mul_f32_e32 v1, 0x4f7ffffe, v1
	v_mul_f32_e32 v2, 0x4f7ffffe, v2
	v_cvt_u32_f32_e32 v1, v1
	v_cvt_u32_f32_e32 v2, v2
	v_readfirstlane_b32 s7, v1
	v_cvt_f32_u32_e32 v1, s0
	v_readfirstlane_b32 s13, v2
	s_mul_i32 s10, s10, s7
	v_rcp_iflag_f32_e32 v1, v1
	s_mul_hi_u32 s10, s7, s10
	s_add_i32 s7, s7, s10
	s_mul_hi_u32 s7, s6, s7
	s_mul_i32 s10, s7, s2
	s_add_i32 s11, s7, 1
	s_sub_i32 s10, s6, s10
	v_mul_f32_e32 v1, 0x4f7ffffe, v1
	s_sub_i32 s12, s10, s2
	s_cmp_ge_u32 s10, s2
	s_cselect_b32 s7, s11, s7
	s_cselect_b32 s10, s12, s10
	s_add_i32 s11, s7, 1
	s_cmp_ge_u32 s10, s2
	v_cvt_u32_f32_e32 v1, v1
	s_cselect_b32 s20, s11, s7
	s_sub_i32 s7, 0, s1
	s_mul_i32 s7, s7, s13
	v_readfirstlane_b32 s16, v1
	s_mul_hi_u32 s7, s13, s7
	s_add_i32 s13, s13, s7
	s_mul_hi_u32 s7, s20, s13
	s_mul_i32 s10, s7, s1
	s_add_i32 s11, s7, 1
	s_sub_i32 s10, s20, s10
	s_sub_i32 s12, s10, s1
	s_cmp_ge_u32 s10, s1
	s_cselect_b32 s7, s11, s7
	s_cselect_b32 s10, s12, s10
	s_add_i32 s11, s7, 1
	s_cmp_ge_u32 s10, s1
	s_load_dwordx4 s[12:15], s[4:5], 0x3c
	s_cselect_b32 s21, s11, s7
	s_sub_i32 s7, 0, s0
	s_mul_i32 s7, s7, s16
	s_mul_hi_u32 s7, s16, s7
	s_add_i32 s16, s16, s7
	s_mul_hi_u32 s7, s21, s16
	s_mul_i32 s10, s7, s0
	s_add_i32 s11, s7, 1
	s_sub_i32 s10, s21, s10
	s_sub_i32 s16, s10, s0
	s_cmp_ge_u32 s10, s0
	s_cselect_b32 s7, s11, s7
	s_cselect_b32 s10, s16, s10
	s_add_i32 s11, s7, 1
	s_cmp_ge_u32 s10, s0
	s_load_dwordx4 s[16:19], s[4:5], 0xc
	s_cselect_b32 s7, s11, s7
	s_waitcnt lgkmcnt(0)
	s_abs_i32 s10, s12
	v_cvt_f32_u32_e32 v1, s10
	s_sub_i32 s22, 0, s10
	v_rcp_iflag_f32_e32 v1, v1
	v_mul_f32_e32 v1, 0x4f7ffffe, v1
	s_abs_i32 s23, s16
	s_xor_b32 s12, s16, s12
	s_ashr_i32 s12, s12, 31
	v_cvt_u32_f32_e32 v1, v1
	v_readfirstlane_b32 s11, v1
	s_mul_i32 s22, s22, s11
	s_mul_hi_u32 s22, s11, s22
	s_add_i32 s11, s11, s22
	s_mul_hi_u32 s11, s23, s11
	s_mul_i32 s16, s11, s10
	s_add_i32 s22, s11, 1
	s_sub_i32 s16, s23, s16
	s_sub_i32 s23, s16, s10
	s_cmp_ge_u32 s16, s10
	s_cselect_b32 s11, s22, s11
	s_cselect_b32 s16, s23, s16
	s_add_i32 s22, s11, 1
	s_cmp_ge_u32 s16, s10
	s_cselect_b32 s10, s22, s11
	s_xor_b32 s10, s10, s12
	s_sub_i32 s22, s10, s12
	s_load_dword s10, s[4:5], 0x68
	s_abs_i32 s39, s22
	v_cvt_f32_u32_e32 v1, s39
	v_rcp_iflag_f32_e32 v1, v1
	v_mul_f32_e32 v1, 0x4f7ffffe, v1
	s_waitcnt lgkmcnt(0)
	s_cmp_ge_i32 s7, s10
	v_cvt_u32_f32_e32 v1, v1
	v_readfirstlane_b32 s23, v1
	s_cbranch_scc1 .LBB36_28
; %bb.1:
	s_clause 0x1
	s_load_dword s36, s[4:5], 0x38
	s_load_dword s24, s[4:5], 0xc4
	s_clause 0x1
	s_load_dwordx2 s[34:35], s[8:9], 0x0
	s_load_dwordx4 s[8:11], s[8:9], 0x24
	v_lshrrev_b32_e32 v4, 5, v0
	v_mov_b32_e32 v5, 0
	s_mul_i32 s2, s20, s2
	s_mul_i32 s1, s21, s1
	;; [unrolled: 1-line block ×3, first 2 shown]
	s_sub_i32 s6, s6, s2
	s_sub_i32 s12, s20, s1
	;; [unrolled: 1-line block ×3, first 2 shown]
	s_mov_b32 s37, exec_lo
	s_waitcnt lgkmcnt(0)
	s_mul_i32 s36, s36, s17
	s_and_b32 s33, s24, 0xffff
	v_cmpx_gt_i32_e64 s36, v4
	s_cbranch_execz .LBB36_23
; %bb.2:
	s_sub_i32 s0, 0, s39
	s_abs_i32 s25, s7
	s_mul_i32 s0, s0, s23
	s_ashr_i32 s24, s22, 31
	s_mul_hi_u32 s0, s23, s0
	s_ashr_i32 s2, s7, 31
	s_add_i32 s23, s23, s0
	s_xor_b32 s2, s2, s24
	s_mul_hi_u32 s40, s25, s23
	s_clause 0x2
	s_load_dwordx4 s[28:31], s[4:5], 0x9c
	s_load_dwordx2 s[0:1], s[4:5], 0x0
	s_load_dwordx4 s[20:23], s[4:5], 0x1c
	s_waitcnt lgkmcnt(0)
	s_mul_i32 s23, s40, s39
	s_lshr_b32 s38, s33, 5
	s_sub_i32 s23, s25, s23
	s_load_dwordx4 s[24:27], s[4:5], 0x4c
	s_add_i32 s41, s40, 1
	s_sub_i32 s42, s23, s39
	s_cmp_ge_u32 s23, s39
	s_waitcnt lgkmcnt(0)
	s_cselect_b32 s27, s41, s40
	s_load_dwordx2 s[40:41], s[4:5], 0x30
	s_cselect_b32 s23, s42, s23
	s_add_i32 s42, s27, 1
	s_cmp_ge_u32 s23, s39
	s_cselect_b32 s23, s42, s27
	s_load_dwordx2 s[42:43], s[4:5], 0xac
	s_xor_b32 s23, s23, s2
	s_abs_i32 s39, s17
	s_sub_i32 s2, s23, s2
	s_mul_i32 s4, s21, s7
	s_mul_i32 s21, s16, s31
	s_ashr_i32 s5, s4, 31
	s_ashr_i32 s27, s17, 31
	s_lshl_b64 s[44:45], s[4:5], 2
	s_sub_i32 s46, 0, s39
	s_sub_i32 s4, s21, s28
	v_cvt_f32_u32_e32 v1, s39
	s_add_u32 s5, s0, s44
	s_mul_i32 s0, s25, s2
	s_addc_u32 s21, s1, s45
	s_ashr_i32 s1, s0, 31
	v_rcp_iflag_f32_e32 v1, v1
	s_lshl_b64 s[0:1], s[0:1], 2
	s_waitcnt lgkmcnt(0)
	s_add_u32 s23, s40, s0
	s_addc_u32 s25, s41, s1
	s_abs_i32 s1, s19
	v_cvt_f32_u32_e32 v2, s1
	s_sub_i32 s0, 0, s1
	v_mul_f32_e32 v1, 0x4f7ffffe, v1
	v_rcp_iflag_f32_e32 v2, v2
	v_cvt_u32_f32_e32 v1, v1
	v_mul_lo_u32 v3, s46, v1
	v_mul_f32_e32 v2, 0x4f7ffffe, v2
	v_cvt_u32_f32_e32 v2, v2
	v_mul_hi_u32 v3, v1, v3
	v_mul_lo_u32 v5, s0, v2
	v_add_nc_u32_e32 v1, v1, v3
	v_and_b32_e32 v3, 31, v0
	v_mul_hi_u32 v5, v2, v5
	v_mul_hi_u32 v1, v4, v1
	v_add_nc_u32_e32 v2, v2, v5
	v_mul_lo_u32 v5, v1, s39
	v_add_nc_u32_e32 v7, 1, v1
	v_mul_hi_u32 v2, v3, v2
	v_sub_nc_u32_e32 v5, v4, v5
	v_mul_lo_u32 v6, v2, s1
	v_cmp_le_u32_e32 vcc_lo, s39, v5
	v_add_nc_u32_e32 v8, 1, v2
	v_cndmask_b32_e32 v1, v1, v7, vcc_lo
	v_subrev_nc_u32_e32 v7, s39, v5
	v_sub_nc_u32_e32 v6, v3, v6
	v_cndmask_b32_e32 v5, v5, v7, vcc_lo
	v_subrev_nc_u32_e32 v9, s1, v6
	v_cmp_le_u32_e64 s0, s1, v6
	v_add_nc_u32_e32 v7, 1, v1
	v_cmp_le_u32_e32 vcc_lo, s39, v5
	v_mov_b32_e32 v5, 0
	v_cndmask_b32_e64 v2, v2, v8, s0
	v_cndmask_b32_e64 v6, v6, v9, s0
	s_ashr_i32 s0, s19, 31
	v_cndmask_b32_e32 v1, v1, v7, vcc_lo
	v_lshlrev_b32_e32 v9, 2, v3
	v_add_nc_u32_e32 v8, 1, v2
	v_cmp_le_u32_e32 vcc_lo, s1, v6
	s_mul_i32 s1, s12, s42
	v_xor_b32_e32 v1, s27, v1
	s_sub_i32 s29, s1, s29
	v_cndmask_b32_e32 v2, v2, v8, vcc_lo
	v_mov_b32_e32 v8, 0
	v_subrev_nc_u32_e32 v6, s27, v1
	s_mov_b32 s27, 0
	v_xor_b32_e32 v2, s0, v2
	v_mul_lo_u32 v1, v6, s17
	v_subrev_nc_u32_e32 v7, s0, v2
	s_mul_i32 s0, s6, s43
	s_sub_i32 s28, s0, s30
	v_mul_lo_u32 v2, v7, s19
	v_sub_nc_u32_e32 v10, v4, v1
	v_cmp_gt_i32_e32 vcc_lo, s18, v7
	v_sub_nc_u32_e32 v11, v3, v2
	s_branch .LBB36_6
.LBB36_3:                               ;   in Loop: Header=BB36_6 Depth=1
	s_or_b32 exec_lo, exec_lo, s39
.LBB36_4:                               ;   in Loop: Header=BB36_6 Depth=1
	s_or_b32 exec_lo, exec_lo, s31
.LBB36_5:                               ;   in Loop: Header=BB36_6 Depth=1
	s_or_b32 exec_lo, exec_lo, s30
	v_add_nc_u32_e32 v4, s38, v4
	v_add_nc_u32_e32 v10, s38, v10
	v_cmp_le_i32_e64 s0, s36, v4
	s_or_b32 s27, s0, s27
	s_andn2_b32 exec_lo, exec_lo, s27
	s_cbranch_execz .LBB36_22
.LBB36_6:                               ; =>This Loop Header: Depth=1
                                        ;     Child Loop BB36_8 Depth 2
                                        ;     Child Loop BB36_14 Depth 2
                                        ;       Child Loop BB36_20 Depth 3
	s_mov_b32 s1, exec_lo
	v_cmpx_le_i32_e64 s17, v10
	s_cbranch_execz .LBB36_10
; %bb.7:                                ;   in Loop: Header=BB36_6 Depth=1
	s_mov_b32 s2, 0
.LBB36_8:                               ;   Parent Loop BB36_6 Depth=1
                                        ; =>  This Inner Loop Header: Depth=2
	v_subrev_nc_u32_e32 v10, s17, v10
	v_add_nc_u32_e32 v6, 1, v6
	v_cmp_gt_i32_e64 s0, s17, v10
	s_or_b32 s2, s0, s2
	s_andn2_b32 exec_lo, exec_lo, s2
	s_cbranch_execnz .LBB36_8
; %bb.9:                                ;   in Loop: Header=BB36_6 Depth=1
	s_or_b32 exec_lo, exec_lo, s2
.LBB36_10:                              ;   in Loop: Header=BB36_6 Depth=1
	s_or_b32 exec_lo, exec_lo, s1
	v_mad_u64_u32 v[1:2], null, v10, s11, s[4:5]
	v_cmp_lt_i32_e64 s0, -1, v1
	v_cmp_gt_i32_e64 s1, s13, v1
	s_and_b32 s0, s0, s1
	s_and_saveexec_b32 s30, s0
	s_cbranch_execz .LBB36_5
; %bb.11:                               ;   in Loop: Header=BB36_6 Depth=1
	s_and_saveexec_b32 s31, vcc_lo
	s_cbranch_execz .LBB36_4
; %bb.12:                               ;   in Loop: Header=BB36_6 Depth=1
	v_mul_lo_u32 v2, s20, v6
	v_mul_lo_u32 v12, s24, v6
	;; [unrolled: 1-line block ×4, first 2 shown]
	s_mov_b32 s39, 0
	v_ashrrev_i32_e32 v3, 31, v2
	v_ashrrev_i32_e32 v13, 31, v12
	;; [unrolled: 1-line block ×4, first 2 shown]
	v_lshlrev_b64 v[1:2], 2, v[2:3]
	v_lshlrev_b64 v[12:13], 2, v[12:13]
	;; [unrolled: 1-line block ×4, first 2 shown]
	v_add_co_u32 v1, s0, s5, v1
	v_add_co_ci_u32_e64 v2, null, s21, v2, s0
	v_add_co_u32 v3, s0, s23, v12
	v_add_co_ci_u32_e64 v13, null, s25, v13, s0
	;; [unrolled: 2-line block ×5, first 2 shown]
	v_mov_b32_e32 v14, v11
	v_mov_b32_e32 v15, v7
	s_branch .LBB36_14
.LBB36_13:                              ;   in Loop: Header=BB36_14 Depth=2
	s_or_b32 exec_lo, exec_lo, s1
	v_cmp_le_i32_e64 s0, s18, v15
	v_add_co_u32 v1, s1, 0x80, v1
	v_add_co_ci_u32_e64 v2, null, 0, v2, s1
	s_waitcnt vmcnt(0)
	v_fmac_f32_e32 v5, v16, v17
	s_or_b32 s39, s0, s39
	s_andn2_b32 exec_lo, exec_lo, s39
	s_cbranch_execz .LBB36_3
.LBB36_14:                              ;   Parent Loop BB36_6 Depth=1
                                        ; =>  This Loop Header: Depth=2
                                        ;       Child Loop BB36_20 Depth 3
	global_load_dword v16, v[1:2], off
	v_lshl_add_u32 v3, v14, 1, s28
	v_mov_b32_e32 v17, 0
	s_mov_b32 s40, exec_lo
	v_cmpx_lt_i32_e32 -1, v3
	s_cbranch_execz .LBB36_18
; %bb.15:                               ;   in Loop: Header=BB36_14 Depth=2
	v_lshl_add_u32 v18, v15, 1, s29
	v_cmp_gt_i32_e64 s0, s15, v3
	v_mov_b32_e32 v17, 0
	v_cmp_gt_i32_e64 s1, s14, v18
	v_cmp_lt_i32_e64 s2, -1, v18
	s_and_b32 s0, s0, s1
	s_and_b32 s0, s0, s2
	s_and_saveexec_b32 s1, s0
	s_cbranch_execz .LBB36_17
; %bb.16:                               ;   in Loop: Header=BB36_14 Depth=2
	v_mad_u64_u32 v[17:18], null, v18, s15, v[3:4]
	v_mov_b32_e32 v18, v8
	v_lshlrev_b64 v[17:18], 2, v[17:18]
	v_add_co_u32 v17, s0, v12, v17
	v_add_co_ci_u32_e64 v18, null, v13, v18, s0
	global_load_dword v17, v[17:18], off
.LBB36_17:                              ;   in Loop: Header=BB36_14 Depth=2
	s_or_b32 exec_lo, exec_lo, s1
.LBB36_18:                              ;   in Loop: Header=BB36_14 Depth=2
	s_or_b32 exec_lo, exec_lo, s40
	v_add_nc_u32_e32 v14, 32, v14
	s_mov_b32 s1, exec_lo
	v_cmpx_le_i32_e64 s19, v14
	s_cbranch_execz .LBB36_13
; %bb.19:                               ;   in Loop: Header=BB36_14 Depth=2
	s_mov_b32 s2, 0
.LBB36_20:                              ;   Parent Loop BB36_6 Depth=1
                                        ;     Parent Loop BB36_14 Depth=2
                                        ; =>    This Inner Loop Header: Depth=3
	v_subrev_nc_u32_e32 v14, s19, v14
	v_add_nc_u32_e32 v15, 1, v15
	v_cmp_gt_i32_e64 s0, s19, v14
	s_or_b32 s2, s0, s2
	s_andn2_b32 exec_lo, exec_lo, s2
	s_cbranch_execnz .LBB36_20
; %bb.21:                               ;   in Loop: Header=BB36_14 Depth=2
	s_or_b32 exec_lo, exec_lo, s2
	s_branch .LBB36_13
.LBB36_22:
	s_or_b32 exec_lo, exec_lo, s27
.LBB36_23:
	s_or_b32 exec_lo, exec_lo, s37
	v_lshl_add_u32 v1, v0, 2, 0
	s_bcnt1_i32_b32 s0, s33
	s_cmp_lg_u32 s0, 1
	s_mov_b32 s0, -1
	ds_write_b32 v1, v5
	s_waitcnt lgkmcnt(0)
	s_barrier
	buffer_gl0_inv
	s_cbranch_scc1 .LBB36_32
; %bb.24:
	s_andn2_b32 vcc_lo, exec_lo, s0
	s_cbranch_vccnz .LBB36_28
.LBB36_25:
	s_cmp_lt_u32 s33, 2
	s_cbranch_scc0 .LBB36_30
.LBB36_26:
	s_mov_b32 s0, exec_lo
	v_cmpx_eq_u32_e32 0, v0
	s_cbranch_execz .LBB36_28
; %bb.27:
	s_mul_i32 s0, s3, s7
	v_mov_b32_e32 v0, 0
	s_ashr_i32 s1, s0, 31
	s_mul_i32 s2, s8, s16
	s_lshl_b64 s[0:1], s[0:1], 2
	ds_read_b32 v1, v0
	s_add_u32 s4, s34, s0
	s_addc_u32 s5, s35, s1
	s_ashr_i32 s3, s2, 31
	s_lshl_b64 s[0:1], s[2:3], 2
	s_mul_i32 s2, s9, s12
	s_add_u32 s4, s4, s0
	s_addc_u32 s5, s5, s1
	s_ashr_i32 s3, s2, 31
	s_lshl_b64 s[0:1], s[2:3], 2
	s_add_u32 s2, s4, s0
	s_mul_i32 s0, s10, s6
	s_addc_u32 s3, s5, s1
	s_ashr_i32 s1, s0, 31
	s_lshl_b64 s[0:1], s[0:1], 2
	s_add_u32 s0, s2, s0
	s_addc_u32 s1, s3, s1
	s_waitcnt lgkmcnt(0)
	global_store_dword v0, v1, s[0:1]
.LBB36_28:
	s_endpgm
	.p2align	6
.LBB36_29:                              ;   in Loop: Header=BB36_30 Depth=1
	s_or_b32 exec_lo, exec_lo, s1
	s_cmp_lt_u32 s33, 4
	s_mov_b32 s33, s0
	s_waitcnt lgkmcnt(0)
	s_barrier
	buffer_gl0_inv
	s_cbranch_scc1 .LBB36_26
.LBB36_30:                              ; =>This Inner Loop Header: Depth=1
	s_lshr_b32 s0, s33, 1
	s_mov_b32 s1, exec_lo
	v_cmpx_gt_u32_e64 s0, v0
	s_cbranch_execz .LBB36_29
; %bb.31:                               ;   in Loop: Header=BB36_30 Depth=1
	v_lshl_add_u32 v2, s0, 2, v1
	ds_read_b32 v2, v2
	ds_read_b32 v3, v1
	s_waitcnt lgkmcnt(0)
	v_add_f32_e32 v2, v2, v3
	ds_write_b32 v1, v2
	s_branch .LBB36_29
.LBB36_32:
	s_trap 2
	; divergent unreachable
	s_cbranch_execz .LBB36_25
	s_branch .LBB36_28
	.section	.rodata,"a",@progbits
	.p2align	6, 0x0
	.amdhsa_kernel _ZN2at6native12_GLOBAL__N_144conv_depthwise3d_cuda_backward_weight_kernelIffLi2ELi2EEEvN5torch10headeronly6detail27GenericPackedTensorAccessorINS5_14TensorAccessorIN3c108ArrayRefIlEEKT_Lm4ENS4_16DefaultPtrTraitsEiEENS_6detail16IndexBoundsCheckILm5EiEESC_Lm5ESD_iEESI_NS6_INS7_ISA_SB_Lm4ESD_iEESH_SB_Lm5ESD_iEEiiiiiiiii
		.amdhsa_group_segment_fixed_size 0
		.amdhsa_private_segment_fixed_size 0
		.amdhsa_kernarg_size 440
		.amdhsa_user_sgpr_count 6
		.amdhsa_user_sgpr_private_segment_buffer 1
		.amdhsa_user_sgpr_dispatch_ptr 0
		.amdhsa_user_sgpr_queue_ptr 0
		.amdhsa_user_sgpr_kernarg_segment_ptr 1
		.amdhsa_user_sgpr_dispatch_id 0
		.amdhsa_user_sgpr_flat_scratch_init 0
		.amdhsa_user_sgpr_private_segment_size 0
		.amdhsa_wavefront_size32 1
		.amdhsa_uses_dynamic_stack 0
		.amdhsa_system_sgpr_private_segment_wavefront_offset 0
		.amdhsa_system_sgpr_workgroup_id_x 1
		.amdhsa_system_sgpr_workgroup_id_y 0
		.amdhsa_system_sgpr_workgroup_id_z 0
		.amdhsa_system_sgpr_workgroup_info 0
		.amdhsa_system_vgpr_workitem_id 0
		.amdhsa_next_free_vgpr 19
		.amdhsa_next_free_sgpr 47
		.amdhsa_reserve_vcc 1
		.amdhsa_reserve_flat_scratch 0
		.amdhsa_float_round_mode_32 0
		.amdhsa_float_round_mode_16_64 0
		.amdhsa_float_denorm_mode_32 3
		.amdhsa_float_denorm_mode_16_64 3
		.amdhsa_dx10_clamp 1
		.amdhsa_ieee_mode 1
		.amdhsa_fp16_overflow 0
		.amdhsa_workgroup_processor_mode 1
		.amdhsa_memory_ordered 1
		.amdhsa_forward_progress 1
		.amdhsa_shared_vgpr_count 0
		.amdhsa_exception_fp_ieee_invalid_op 0
		.amdhsa_exception_fp_denorm_src 0
		.amdhsa_exception_fp_ieee_div_zero 0
		.amdhsa_exception_fp_ieee_overflow 0
		.amdhsa_exception_fp_ieee_underflow 0
		.amdhsa_exception_fp_ieee_inexact 0
		.amdhsa_exception_int_div_zero 0
	.end_amdhsa_kernel
	.section	.text._ZN2at6native12_GLOBAL__N_144conv_depthwise3d_cuda_backward_weight_kernelIffLi2ELi2EEEvN5torch10headeronly6detail27GenericPackedTensorAccessorINS5_14TensorAccessorIN3c108ArrayRefIlEEKT_Lm4ENS4_16DefaultPtrTraitsEiEENS_6detail16IndexBoundsCheckILm5EiEESC_Lm5ESD_iEESI_NS6_INS7_ISA_SB_Lm4ESD_iEESH_SB_Lm5ESD_iEEiiiiiiiii,"axG",@progbits,_ZN2at6native12_GLOBAL__N_144conv_depthwise3d_cuda_backward_weight_kernelIffLi2ELi2EEEvN5torch10headeronly6detail27GenericPackedTensorAccessorINS5_14TensorAccessorIN3c108ArrayRefIlEEKT_Lm4ENS4_16DefaultPtrTraitsEiEENS_6detail16IndexBoundsCheckILm5EiEESC_Lm5ESD_iEESI_NS6_INS7_ISA_SB_Lm4ESD_iEESH_SB_Lm5ESD_iEEiiiiiiiii,comdat
.Lfunc_end36:
	.size	_ZN2at6native12_GLOBAL__N_144conv_depthwise3d_cuda_backward_weight_kernelIffLi2ELi2EEEvN5torch10headeronly6detail27GenericPackedTensorAccessorINS5_14TensorAccessorIN3c108ArrayRefIlEEKT_Lm4ENS4_16DefaultPtrTraitsEiEENS_6detail16IndexBoundsCheckILm5EiEESC_Lm5ESD_iEESI_NS6_INS7_ISA_SB_Lm4ESD_iEESH_SB_Lm5ESD_iEEiiiiiiiii, .Lfunc_end36-_ZN2at6native12_GLOBAL__N_144conv_depthwise3d_cuda_backward_weight_kernelIffLi2ELi2EEEvN5torch10headeronly6detail27GenericPackedTensorAccessorINS5_14TensorAccessorIN3c108ArrayRefIlEEKT_Lm4ENS4_16DefaultPtrTraitsEiEENS_6detail16IndexBoundsCheckILm5EiEESC_Lm5ESD_iEESI_NS6_INS7_ISA_SB_Lm4ESD_iEESH_SB_Lm5ESD_iEEiiiiiiiii
                                        ; -- End function
	.set _ZN2at6native12_GLOBAL__N_144conv_depthwise3d_cuda_backward_weight_kernelIffLi2ELi2EEEvN5torch10headeronly6detail27GenericPackedTensorAccessorINS5_14TensorAccessorIN3c108ArrayRefIlEEKT_Lm4ENS4_16DefaultPtrTraitsEiEENS_6detail16IndexBoundsCheckILm5EiEESC_Lm5ESD_iEESI_NS6_INS7_ISA_SB_Lm4ESD_iEESH_SB_Lm5ESD_iEEiiiiiiiii.num_vgpr, 19
	.set _ZN2at6native12_GLOBAL__N_144conv_depthwise3d_cuda_backward_weight_kernelIffLi2ELi2EEEvN5torch10headeronly6detail27GenericPackedTensorAccessorINS5_14TensorAccessorIN3c108ArrayRefIlEEKT_Lm4ENS4_16DefaultPtrTraitsEiEENS_6detail16IndexBoundsCheckILm5EiEESC_Lm5ESD_iEESI_NS6_INS7_ISA_SB_Lm4ESD_iEESH_SB_Lm5ESD_iEEiiiiiiiii.num_agpr, 0
	.set _ZN2at6native12_GLOBAL__N_144conv_depthwise3d_cuda_backward_weight_kernelIffLi2ELi2EEEvN5torch10headeronly6detail27GenericPackedTensorAccessorINS5_14TensorAccessorIN3c108ArrayRefIlEEKT_Lm4ENS4_16DefaultPtrTraitsEiEENS_6detail16IndexBoundsCheckILm5EiEESC_Lm5ESD_iEESI_NS6_INS7_ISA_SB_Lm4ESD_iEESH_SB_Lm5ESD_iEEiiiiiiiii.numbered_sgpr, 47
	.set _ZN2at6native12_GLOBAL__N_144conv_depthwise3d_cuda_backward_weight_kernelIffLi2ELi2EEEvN5torch10headeronly6detail27GenericPackedTensorAccessorINS5_14TensorAccessorIN3c108ArrayRefIlEEKT_Lm4ENS4_16DefaultPtrTraitsEiEENS_6detail16IndexBoundsCheckILm5EiEESC_Lm5ESD_iEESI_NS6_INS7_ISA_SB_Lm4ESD_iEESH_SB_Lm5ESD_iEEiiiiiiiii.num_named_barrier, 0
	.set _ZN2at6native12_GLOBAL__N_144conv_depthwise3d_cuda_backward_weight_kernelIffLi2ELi2EEEvN5torch10headeronly6detail27GenericPackedTensorAccessorINS5_14TensorAccessorIN3c108ArrayRefIlEEKT_Lm4ENS4_16DefaultPtrTraitsEiEENS_6detail16IndexBoundsCheckILm5EiEESC_Lm5ESD_iEESI_NS6_INS7_ISA_SB_Lm4ESD_iEESH_SB_Lm5ESD_iEEiiiiiiiii.private_seg_size, 0
	.set _ZN2at6native12_GLOBAL__N_144conv_depthwise3d_cuda_backward_weight_kernelIffLi2ELi2EEEvN5torch10headeronly6detail27GenericPackedTensorAccessorINS5_14TensorAccessorIN3c108ArrayRefIlEEKT_Lm4ENS4_16DefaultPtrTraitsEiEENS_6detail16IndexBoundsCheckILm5EiEESC_Lm5ESD_iEESI_NS6_INS7_ISA_SB_Lm4ESD_iEESH_SB_Lm5ESD_iEEiiiiiiiii.uses_vcc, 1
	.set _ZN2at6native12_GLOBAL__N_144conv_depthwise3d_cuda_backward_weight_kernelIffLi2ELi2EEEvN5torch10headeronly6detail27GenericPackedTensorAccessorINS5_14TensorAccessorIN3c108ArrayRefIlEEKT_Lm4ENS4_16DefaultPtrTraitsEiEENS_6detail16IndexBoundsCheckILm5EiEESC_Lm5ESD_iEESI_NS6_INS7_ISA_SB_Lm4ESD_iEESH_SB_Lm5ESD_iEEiiiiiiiii.uses_flat_scratch, 0
	.set _ZN2at6native12_GLOBAL__N_144conv_depthwise3d_cuda_backward_weight_kernelIffLi2ELi2EEEvN5torch10headeronly6detail27GenericPackedTensorAccessorINS5_14TensorAccessorIN3c108ArrayRefIlEEKT_Lm4ENS4_16DefaultPtrTraitsEiEENS_6detail16IndexBoundsCheckILm5EiEESC_Lm5ESD_iEESI_NS6_INS7_ISA_SB_Lm4ESD_iEESH_SB_Lm5ESD_iEEiiiiiiiii.has_dyn_sized_stack, 0
	.set _ZN2at6native12_GLOBAL__N_144conv_depthwise3d_cuda_backward_weight_kernelIffLi2ELi2EEEvN5torch10headeronly6detail27GenericPackedTensorAccessorINS5_14TensorAccessorIN3c108ArrayRefIlEEKT_Lm4ENS4_16DefaultPtrTraitsEiEENS_6detail16IndexBoundsCheckILm5EiEESC_Lm5ESD_iEESI_NS6_INS7_ISA_SB_Lm4ESD_iEESH_SB_Lm5ESD_iEEiiiiiiiii.has_recursion, 0
	.set _ZN2at6native12_GLOBAL__N_144conv_depthwise3d_cuda_backward_weight_kernelIffLi2ELi2EEEvN5torch10headeronly6detail27GenericPackedTensorAccessorINS5_14TensorAccessorIN3c108ArrayRefIlEEKT_Lm4ENS4_16DefaultPtrTraitsEiEENS_6detail16IndexBoundsCheckILm5EiEESC_Lm5ESD_iEESI_NS6_INS7_ISA_SB_Lm4ESD_iEESH_SB_Lm5ESD_iEEiiiiiiiii.has_indirect_call, 0
	.section	.AMDGPU.csdata,"",@progbits
; Kernel info:
; codeLenInByte = 1964
; TotalNumSgprs: 49
; NumVgprs: 19
; ScratchSize: 0
; MemoryBound: 0
; FloatMode: 240
; IeeeMode: 1
; LDSByteSize: 0 bytes/workgroup (compile time only)
; SGPRBlocks: 0
; VGPRBlocks: 2
; NumSGPRsForWavesPerEU: 49
; NumVGPRsForWavesPerEU: 19
; Occupancy: 16
; WaveLimiterHint : 1
; COMPUTE_PGM_RSRC2:SCRATCH_EN: 0
; COMPUTE_PGM_RSRC2:USER_SGPR: 6
; COMPUTE_PGM_RSRC2:TRAP_HANDLER: 0
; COMPUTE_PGM_RSRC2:TGID_X_EN: 1
; COMPUTE_PGM_RSRC2:TGID_Y_EN: 0
; COMPUTE_PGM_RSRC2:TGID_Z_EN: 0
; COMPUTE_PGM_RSRC2:TIDIG_COMP_CNT: 0
	.section	.text._ZN2at6native12_GLOBAL__N_144conv_depthwise3d_cuda_backward_weight_kernelIffLin1ELin1EEEvN5torch10headeronly6detail27GenericPackedTensorAccessorINS5_14TensorAccessorIN3c108ArrayRefIlEEKT_Lm4ENS4_16DefaultPtrTraitsEiEENS_6detail16IndexBoundsCheckILm5EiEESC_Lm5ESD_iEESI_NS6_INS7_ISA_SB_Lm4ESD_iEESH_SB_Lm5ESD_iEEiiiiiiiii,"axG",@progbits,_ZN2at6native12_GLOBAL__N_144conv_depthwise3d_cuda_backward_weight_kernelIffLin1ELin1EEEvN5torch10headeronly6detail27GenericPackedTensorAccessorINS5_14TensorAccessorIN3c108ArrayRefIlEEKT_Lm4ENS4_16DefaultPtrTraitsEiEENS_6detail16IndexBoundsCheckILm5EiEESC_Lm5ESD_iEESI_NS6_INS7_ISA_SB_Lm4ESD_iEESH_SB_Lm5ESD_iEEiiiiiiiii,comdat
	.globl	_ZN2at6native12_GLOBAL__N_144conv_depthwise3d_cuda_backward_weight_kernelIffLin1ELin1EEEvN5torch10headeronly6detail27GenericPackedTensorAccessorINS5_14TensorAccessorIN3c108ArrayRefIlEEKT_Lm4ENS4_16DefaultPtrTraitsEiEENS_6detail16IndexBoundsCheckILm5EiEESC_Lm5ESD_iEESI_NS6_INS7_ISA_SB_Lm4ESD_iEESH_SB_Lm5ESD_iEEiiiiiiiii ; -- Begin function _ZN2at6native12_GLOBAL__N_144conv_depthwise3d_cuda_backward_weight_kernelIffLin1ELin1EEEvN5torch10headeronly6detail27GenericPackedTensorAccessorINS5_14TensorAccessorIN3c108ArrayRefIlEEKT_Lm4ENS4_16DefaultPtrTraitsEiEENS_6detail16IndexBoundsCheckILm5EiEESC_Lm5ESD_iEESI_NS6_INS7_ISA_SB_Lm4ESD_iEESH_SB_Lm5ESD_iEEiiiiiiiii
	.p2align	8
	.type	_ZN2at6native12_GLOBAL__N_144conv_depthwise3d_cuda_backward_weight_kernelIffLin1ELin1EEEvN5torch10headeronly6detail27GenericPackedTensorAccessorINS5_14TensorAccessorIN3c108ArrayRefIlEEKT_Lm4ENS4_16DefaultPtrTraitsEiEENS_6detail16IndexBoundsCheckILm5EiEESC_Lm5ESD_iEESI_NS6_INS7_ISA_SB_Lm4ESD_iEESH_SB_Lm5ESD_iEEiiiiiiiii,@function
_ZN2at6native12_GLOBAL__N_144conv_depthwise3d_cuda_backward_weight_kernelIffLin1ELin1EEEvN5torch10headeronly6detail27GenericPackedTensorAccessorINS5_14TensorAccessorIN3c108ArrayRefIlEEKT_Lm4ENS4_16DefaultPtrTraitsEiEENS_6detail16IndexBoundsCheckILm5EiEESC_Lm5ESD_iEESI_NS6_INS7_ISA_SB_Lm4ESD_iEESH_SB_Lm5ESD_iEEiiiiiiiii: ; @_ZN2at6native12_GLOBAL__N_144conv_depthwise3d_cuda_backward_weight_kernelIffLin1ELin1EEEvN5torch10headeronly6detail27GenericPackedTensorAccessorINS5_14TensorAccessorIN3c108ArrayRefIlEEKT_Lm4ENS4_16DefaultPtrTraitsEiEENS_6detail16IndexBoundsCheckILm5EiEESC_Lm5ESD_iEESI_NS6_INS7_ISA_SB_Lm4ESD_iEESH_SB_Lm5ESD_iEEiiiiiiiii
; %bb.0:
	s_load_dwordx4 s[0:3], s[4:5], 0x70
	s_add_u32 s8, s4, 0x60
	s_addc_u32 s9, s5, 0
	s_clause 0x1
	s_load_dwordx4 s[16:19], s[4:5], 0x3c
	s_load_dwordx4 s[20:23], s[4:5], 0xc
	s_waitcnt lgkmcnt(0)
	v_cvt_f32_u32_e32 v1, s2
	v_cvt_f32_u32_e32 v2, s1
	s_sub_i32 s10, 0, s2
	v_rcp_iflag_f32_e32 v1, v1
	v_rcp_iflag_f32_e32 v2, v2
	v_mul_f32_e32 v1, 0x4f7ffffe, v1
	v_mul_f32_e32 v2, 0x4f7ffffe, v2
	v_cvt_u32_f32_e32 v1, v1
	v_cvt_u32_f32_e32 v2, v2
	v_readfirstlane_b32 s7, v1
	v_cvt_f32_u32_e32 v1, s0
	v_readfirstlane_b32 s13, v2
	s_mul_i32 s10, s10, s7
	v_rcp_iflag_f32_e32 v1, v1
	s_mul_hi_u32 s10, s7, s10
	s_add_i32 s7, s7, s10
	s_mul_hi_u32 s7, s6, s7
	s_mul_i32 s10, s7, s2
	s_add_i32 s11, s7, 1
	s_sub_i32 s10, s6, s10
	v_mul_f32_e32 v1, 0x4f7ffffe, v1
	s_sub_i32 s12, s10, s2
	s_cmp_ge_u32 s10, s2
	s_cselect_b32 s7, s11, s7
	s_cselect_b32 s10, s12, s10
	s_add_i32 s11, s7, 1
	s_cmp_ge_u32 s10, s2
	v_cvt_u32_f32_e32 v1, v1
	s_cselect_b32 s24, s11, s7
	s_sub_i32 s7, 0, s1
	s_mul_i32 s7, s7, s13
	s_mul_hi_u32 s7, s13, s7
	s_add_i32 s13, s13, s7
	s_mul_hi_u32 s7, s24, s13
	v_readfirstlane_b32 s13, v1
	s_mul_i32 s10, s7, s1
	s_add_i32 s11, s7, 1
	s_sub_i32 s10, s24, s10
	s_sub_i32 s12, s10, s1
	s_cmp_ge_u32 s10, s1
	s_cselect_b32 s7, s11, s7
	s_cselect_b32 s10, s12, s10
	s_add_i32 s11, s7, 1
	s_cmp_ge_u32 s10, s1
	s_cselect_b32 s25, s11, s7
	s_sub_i32 s7, 0, s0
	s_mul_i32 s7, s7, s13
	s_mul_hi_u32 s7, s13, s7
	s_add_i32 s13, s13, s7
	s_mul_hi_u32 s7, s25, s13
	s_mul_i32 s10, s7, s0
	s_add_i32 s11, s7, 1
	s_sub_i32 s10, s25, s10
	s_sub_i32 s12, s10, s0
	s_cmp_ge_u32 s10, s0
	s_cselect_b32 s7, s11, s7
	s_cselect_b32 s10, s12, s10
	s_add_i32 s11, s7, 1
	s_cmp_ge_u32 s10, s0
	s_cselect_b32 s7, s11, s7
	s_abs_i32 s10, s16
	s_abs_i32 s13, s20
	v_cvt_f32_u32_e32 v1, s10
	s_sub_i32 s12, 0, s10
	v_rcp_iflag_f32_e32 v1, v1
	v_mul_f32_e32 v1, 0x4f7ffffe, v1
	v_cvt_u32_f32_e32 v1, v1
	v_readfirstlane_b32 s11, v1
	s_mul_i32 s12, s12, s11
	s_mul_hi_u32 s12, s11, s12
	s_add_i32 s11, s11, s12
	s_xor_b32 s12, s20, s16
	s_mul_hi_u32 s11, s13, s11
	s_ashr_i32 s12, s12, 31
	s_mul_i32 s14, s11, s10
	s_sub_i32 s13, s13, s14
	s_add_i32 s14, s11, 1
	s_sub_i32 s15, s13, s10
	s_cmp_ge_u32 s13, s10
	s_cselect_b32 s11, s14, s11
	s_cselect_b32 s13, s15, s13
	s_add_i32 s14, s11, 1
	s_cmp_ge_u32 s13, s10
	s_cselect_b32 s10, s14, s11
	s_xor_b32 s10, s10, s12
	s_sub_i32 s26, s10, s12
	s_load_dword s10, s[4:5], 0x68
	s_abs_i32 s44, s26
	v_cvt_f32_u32_e32 v1, s44
	v_rcp_iflag_f32_e32 v1, v1
	v_mul_f32_e32 v1, 0x4f7ffffe, v1
	s_waitcnt lgkmcnt(0)
	s_cmp_ge_i32 s7, s10
	v_cvt_u32_f32_e32 v1, v1
	v_readfirstlane_b32 s27, v1
	s_cbranch_scc1 .LBB37_28
; %bb.1:
	s_clause 0x1
	s_load_dword s41, s[4:5], 0x38
	s_load_dwordx4 s[36:39], s[8:9], 0x44
	s_load_dword s28, s[4:5], 0xc4
	s_clause 0x1
	s_load_dwordx2 s[34:35], s[8:9], 0x0
	s_load_dwordx8 s[8:15], s[8:9], 0x24
	v_lshrrev_b32_e32 v6, 5, v0
	v_mov_b32_e32 v7, 0
	s_mul_i32 s2, s24, s2
	s_mul_i32 s1, s25, s1
	;; [unrolled: 1-line block ×3, first 2 shown]
	s_sub_i32 s16, s6, s2
	s_sub_i32 s20, s24, s1
	;; [unrolled: 1-line block ×3, first 2 shown]
	s_mov_b32 s42, exec_lo
	s_waitcnt lgkmcnt(0)
	s_mul_i32 s41, s41, s21
	s_and_b32 s40, s28, 0xffff
	v_cmpx_gt_i32_e64 s41, v6
	s_cbranch_execz .LBB37_23
; %bb.2:
	s_sub_i32 s0, 0, s44
	s_abs_i32 s28, s7
	s_mul_i32 s0, s0, s27
	s_ashr_i32 s6, s26, 31
	s_mul_hi_u32 s0, s27, s0
	s_ashr_i32 s2, s7, 31
	s_add_i32 s27, s27, s0
	s_xor_b32 s2, s2, s6
	s_mul_hi_u32 s45, s28, s27
	s_clause 0x1
	s_load_dwordx2 s[0:1], s[4:5], 0x0
	s_load_dwordx4 s[24:27], s[4:5], 0x1c
	s_waitcnt lgkmcnt(0)
	s_mul_i32 s27, s45, s44
	s_lshr_b32 s43, s40, 5
	s_sub_i32 s6, s28, s27
	s_add_i32 s27, s45, 1
	s_sub_i32 s46, s6, s44
	s_load_dwordx4 s[28:31], s[4:5], 0x4c
	s_cmp_ge_u32 s6, s44
	v_mov_b32_e32 v10, 0
	s_cselect_b32 s27, s27, s45
	s_cselect_b32 s6, s46, s6
	s_waitcnt lgkmcnt(0)
	s_add_i32 s31, s27, 1
	s_cmp_ge_u32 s6, s44
	s_load_dwordx2 s[44:45], s[4:5], 0x30
	s_cselect_b32 s4, s31, s27
	s_abs_i32 s31, s21
	s_xor_b32 s4, s4, s2
	s_ashr_i32 s6, s21, 31
	s_sub_i32 s2, s4, s2
	s_sub_i32 s48, 0, s31
	s_mul_i32 s4, s25, s7
	s_mul_i32 s25, s33, s37
	s_ashr_i32 s5, s4, 31
	v_cvt_f32_u32_e32 v1, s31
	s_lshl_b64 s[46:47], s[4:5], 2
	s_sub_i32 s4, s25, s14
	s_add_u32 s5, s0, s46
	s_mul_i32 s0, s29, s2
	s_addc_u32 s25, s1, s47
	s_ashr_i32 s1, s0, 31
	v_rcp_iflag_f32_e32 v1, v1
	s_lshl_b64 s[0:1], s[0:1], 2
	s_waitcnt lgkmcnt(0)
	s_add_u32 s27, s44, s0
	s_addc_u32 s29, s45, s1
	s_abs_i32 s1, s23
	v_cvt_f32_u32_e32 v2, s1
	s_sub_i32 s0, 0, s1
	v_mul_f32_e32 v1, 0x4f7ffffe, v1
	v_rcp_iflag_f32_e32 v2, v2
	v_cvt_u32_f32_e32 v1, v1
	v_mul_lo_u32 v3, s48, v1
	v_mul_f32_e32 v2, 0x4f7ffffe, v2
	v_cvt_u32_f32_e32 v2, v2
	v_mul_hi_u32 v3, v1, v3
	v_mul_lo_u32 v4, s0, v2
	v_add_nc_u32_e32 v1, v1, v3
	v_and_b32_e32 v3, 31, v0
	v_mul_hi_u32 v4, v2, v4
	v_mul_hi_u32 v1, v6, v1
	v_lshlrev_b32_e32 v11, 2, v3
	v_add_nc_u32_e32 v2, v2, v4
	v_mul_lo_u32 v4, v1, s31
	v_add_nc_u32_e32 v7, 1, v1
	v_mul_hi_u32 v2, v3, v2
	v_sub_nc_u32_e32 v4, v6, v4
	v_mul_lo_u32 v5, v2, s1
	v_cmp_le_u32_e32 vcc_lo, s31, v4
	v_add_nc_u32_e32 v8, 1, v2
	v_cndmask_b32_e32 v1, v1, v7, vcc_lo
	v_subrev_nc_u32_e32 v7, s31, v4
	v_sub_nc_u32_e32 v5, v3, v5
	v_cndmask_b32_e32 v4, v4, v7, vcc_lo
	v_subrev_nc_u32_e32 v9, s1, v5
	v_cmp_le_u32_e64 s0, s1, v5
	v_add_nc_u32_e32 v7, 1, v1
	v_cmp_le_u32_e32 vcc_lo, s31, v4
	s_mov_b32 s31, 0
	v_cndmask_b32_e64 v2, v2, v8, s0
	v_cndmask_b32_e64 v5, v5, v9, s0
	s_ashr_i32 s0, s23, 31
	v_cndmask_b32_e32 v1, v1, v7, vcc_lo
	v_mov_b32_e32 v7, 0
	v_add_nc_u32_e32 v8, 1, v2
	v_cmp_le_u32_e32 vcc_lo, s1, v5
	s_mul_i32 s1, s20, s38
	v_xor_b32_e32 v1, s6, v1
	s_sub_i32 s14, s1, s15
	v_cndmask_b32_e32 v2, v2, v8, vcc_lo
	v_subrev_nc_u32_e32 v8, s6, v1
	v_xor_b32_e32 v2, s0, v2
	v_mul_lo_u32 v1, v8, s21
	v_subrev_nc_u32_e32 v9, s0, v2
	s_mul_i32 s0, s16, s39
	s_sub_i32 s6, s0, s36
	v_mul_lo_u32 v2, v9, s23
	v_sub_nc_u32_e32 v12, v6, v1
	v_cmp_gt_i32_e32 vcc_lo, s22, v9
	v_sub_nc_u32_e32 v13, v3, v2
	s_branch .LBB37_6
.LBB37_3:                               ;   in Loop: Header=BB37_6 Depth=1
	s_or_b32 exec_lo, exec_lo, s37
.LBB37_4:                               ;   in Loop: Header=BB37_6 Depth=1
	s_or_b32 exec_lo, exec_lo, s36
.LBB37_5:                               ;   in Loop: Header=BB37_6 Depth=1
	s_or_b32 exec_lo, exec_lo, s15
	v_add_nc_u32_e32 v6, s43, v6
	v_add_nc_u32_e32 v12, s43, v12
	v_cmp_le_i32_e64 s0, s41, v6
	s_or_b32 s31, s0, s31
	s_andn2_b32 exec_lo, exec_lo, s31
	s_cbranch_execz .LBB37_22
.LBB37_6:                               ; =>This Loop Header: Depth=1
                                        ;     Child Loop BB37_8 Depth 2
                                        ;     Child Loop BB37_14 Depth 2
                                        ;       Child Loop BB37_20 Depth 3
	s_mov_b32 s1, exec_lo
	v_cmpx_le_i32_e64 s21, v12
	s_cbranch_execz .LBB37_10
; %bb.7:                                ;   in Loop: Header=BB37_6 Depth=1
	s_mov_b32 s2, 0
.LBB37_8:                               ;   Parent Loop BB37_6 Depth=1
                                        ; =>  This Inner Loop Header: Depth=2
	v_subrev_nc_u32_e32 v12, s21, v12
	v_add_nc_u32_e32 v8, 1, v8
	v_cmp_gt_i32_e64 s0, s21, v12
	s_or_b32 s2, s0, s2
	s_andn2_b32 exec_lo, exec_lo, s2
	s_cbranch_execnz .LBB37_8
; %bb.9:                                ;   in Loop: Header=BB37_6 Depth=1
	s_or_b32 exec_lo, exec_lo, s2
.LBB37_10:                              ;   in Loop: Header=BB37_6 Depth=1
	s_or_b32 exec_lo, exec_lo, s1
	v_mad_u64_u32 v[1:2], null, v12, s11, s[4:5]
	v_cmp_lt_i32_e64 s0, -1, v1
	v_cmp_gt_i32_e64 s1, s17, v1
	s_and_b32 s0, s0, s1
	s_and_saveexec_b32 s15, s0
	s_cbranch_execz .LBB37_5
; %bb.11:                               ;   in Loop: Header=BB37_6 Depth=1
	s_and_saveexec_b32 s36, vcc_lo
	s_cbranch_execz .LBB37_4
; %bb.12:                               ;   in Loop: Header=BB37_6 Depth=1
	v_mul_lo_u32 v2, s24, v8
	v_mul_lo_u32 v4, s28, v8
	;; [unrolled: 1-line block ×4, first 2 shown]
	s_mov_b32 s37, 0
	v_ashrrev_i32_e32 v3, 31, v2
	v_ashrrev_i32_e32 v5, 31, v4
	;; [unrolled: 1-line block ×4, first 2 shown]
	v_lshlrev_b64 v[1:2], 2, v[2:3]
	v_lshlrev_b64 v[3:4], 2, v[4:5]
	;; [unrolled: 1-line block ×4, first 2 shown]
	v_add_co_u32 v1, s0, s5, v1
	v_add_co_ci_u32_e64 v2, null, s25, v2, s0
	v_add_co_u32 v3, s0, s27, v3
	v_add_co_ci_u32_e64 v4, null, s29, v4, s0
	;; [unrolled: 2-line block ×5, first 2 shown]
	v_mov_b32_e32 v16, v13
	v_mov_b32_e32 v17, v9
	s_branch .LBB37_14
.LBB37_13:                              ;   in Loop: Header=BB37_14 Depth=2
	s_or_b32 exec_lo, exec_lo, s1
	v_cmp_le_i32_e64 s0, s22, v17
	v_add_co_u32 v1, s1, 0x80, v1
	v_add_co_ci_u32_e64 v2, null, 0, v2, s1
	s_waitcnt vmcnt(0)
	v_fmac_f32_e32 v7, v18, v5
	s_or_b32 s37, s0, s37
	s_andn2_b32 exec_lo, exec_lo, s37
	s_cbranch_execz .LBB37_3
.LBB37_14:                              ;   Parent Loop BB37_6 Depth=1
                                        ; =>  This Loop Header: Depth=2
                                        ;       Child Loop BB37_20 Depth 3
	global_load_dword v18, v[1:2], off
	v_mad_u64_u32 v[3:4], null, v16, s13, s[6:7]
	v_mov_b32_e32 v5, 0
	s_mov_b32 s38, exec_lo
	v_cmpx_lt_i32_e32 -1, v3
	s_cbranch_execz .LBB37_18
; %bb.15:                               ;   in Loop: Header=BB37_14 Depth=2
	v_mad_u64_u32 v[4:5], null, v17, s12, s[14:15]
	v_cmp_gt_i32_e64 s0, s19, v3
	v_mov_b32_e32 v5, 0
	v_cmp_gt_i32_e64 s1, s18, v4
	v_cmp_lt_i32_e64 s2, -1, v4
	s_and_b32 s0, s0, s1
	s_and_b32 s0, s0, s2
	s_and_saveexec_b32 s1, s0
	s_cbranch_execz .LBB37_17
; %bb.16:                               ;   in Loop: Header=BB37_14 Depth=2
	v_mad_u64_u32 v[3:4], null, v4, s19, v[3:4]
	v_mov_b32_e32 v4, v10
	v_lshlrev_b64 v[3:4], 2, v[3:4]
	v_add_co_u32 v3, s0, v14, v3
	v_add_co_ci_u32_e64 v4, null, v15, v4, s0
	global_load_dword v5, v[3:4], off
.LBB37_17:                              ;   in Loop: Header=BB37_14 Depth=2
	s_or_b32 exec_lo, exec_lo, s1
.LBB37_18:                              ;   in Loop: Header=BB37_14 Depth=2
	s_or_b32 exec_lo, exec_lo, s38
	v_add_nc_u32_e32 v16, 32, v16
	s_mov_b32 s1, exec_lo
	v_cmpx_le_i32_e64 s23, v16
	s_cbranch_execz .LBB37_13
; %bb.19:                               ;   in Loop: Header=BB37_14 Depth=2
	s_mov_b32 s2, 0
.LBB37_20:                              ;   Parent Loop BB37_6 Depth=1
                                        ;     Parent Loop BB37_14 Depth=2
                                        ; =>    This Inner Loop Header: Depth=3
	v_subrev_nc_u32_e32 v16, s23, v16
	v_add_nc_u32_e32 v17, 1, v17
	v_cmp_gt_i32_e64 s0, s23, v16
	s_or_b32 s2, s0, s2
	s_andn2_b32 exec_lo, exec_lo, s2
	s_cbranch_execnz .LBB37_20
; %bb.21:                               ;   in Loop: Header=BB37_14 Depth=2
	s_or_b32 exec_lo, exec_lo, s2
	s_branch .LBB37_13
.LBB37_22:
	s_or_b32 exec_lo, exec_lo, s31
.LBB37_23:
	s_or_b32 exec_lo, exec_lo, s42
	v_lshl_add_u32 v1, v0, 2, 0
	s_bcnt1_i32_b32 s0, s40
	s_cmp_lg_u32 s0, 1
	s_mov_b32 s0, -1
	ds_write_b32 v1, v7
	s_waitcnt lgkmcnt(0)
	s_barrier
	buffer_gl0_inv
	s_cbranch_scc1 .LBB37_32
; %bb.24:
	s_andn2_b32 vcc_lo, exec_lo, s0
	s_cbranch_vccnz .LBB37_28
.LBB37_25:
	s_cmp_lt_u32 s40, 2
	s_cbranch_scc0 .LBB37_30
.LBB37_26:
	s_mov_b32 s0, exec_lo
	v_cmpx_eq_u32_e32 0, v0
	s_cbranch_execz .LBB37_28
; %bb.27:
	s_mul_i32 s0, s3, s7
	v_mov_b32_e32 v0, 0
	s_ashr_i32 s1, s0, 31
	s_mul_i32 s2, s8, s33
	s_lshl_b64 s[0:1], s[0:1], 2
	ds_read_b32 v1, v0
	s_add_u32 s4, s34, s0
	s_addc_u32 s5, s35, s1
	s_ashr_i32 s3, s2, 31
	s_lshl_b64 s[0:1], s[2:3], 2
	s_mul_i32 s2, s9, s20
	s_add_u32 s4, s4, s0
	s_addc_u32 s5, s5, s1
	s_ashr_i32 s3, s2, 31
	s_lshl_b64 s[0:1], s[2:3], 2
	s_add_u32 s2, s4, s0
	s_mul_i32 s0, s10, s16
	s_addc_u32 s3, s5, s1
	s_ashr_i32 s1, s0, 31
	s_lshl_b64 s[0:1], s[0:1], 2
	s_add_u32 s0, s2, s0
	s_addc_u32 s1, s3, s1
	s_waitcnt lgkmcnt(0)
	global_store_dword v0, v1, s[0:1]
.LBB37_28:
	s_endpgm
	.p2align	6
.LBB37_29:                              ;   in Loop: Header=BB37_30 Depth=1
	s_or_b32 exec_lo, exec_lo, s1
	s_cmp_lt_u32 s40, 4
	s_mov_b32 s40, s0
	s_waitcnt lgkmcnt(0)
	s_barrier
	buffer_gl0_inv
	s_cbranch_scc1 .LBB37_26
.LBB37_30:                              ; =>This Inner Loop Header: Depth=1
	s_lshr_b32 s0, s40, 1
	s_mov_b32 s1, exec_lo
	v_cmpx_gt_u32_e64 s0, v0
	s_cbranch_execz .LBB37_29
; %bb.31:                               ;   in Loop: Header=BB37_30 Depth=1
	v_lshl_add_u32 v2, s0, 2, v1
	ds_read_b32 v2, v2
	ds_read_b32 v3, v1
	s_waitcnt lgkmcnt(0)
	v_add_f32_e32 v2, v2, v3
	ds_write_b32 v1, v2
	s_branch .LBB37_29
.LBB37_32:
	s_trap 2
	; divergent unreachable
	s_cbranch_execz .LBB37_25
	s_branch .LBB37_28
	.section	.rodata,"a",@progbits
	.p2align	6, 0x0
	.amdhsa_kernel _ZN2at6native12_GLOBAL__N_144conv_depthwise3d_cuda_backward_weight_kernelIffLin1ELin1EEEvN5torch10headeronly6detail27GenericPackedTensorAccessorINS5_14TensorAccessorIN3c108ArrayRefIlEEKT_Lm4ENS4_16DefaultPtrTraitsEiEENS_6detail16IndexBoundsCheckILm5EiEESC_Lm5ESD_iEESI_NS6_INS7_ISA_SB_Lm4ESD_iEESH_SB_Lm5ESD_iEEiiiiiiiii
		.amdhsa_group_segment_fixed_size 0
		.amdhsa_private_segment_fixed_size 0
		.amdhsa_kernarg_size 440
		.amdhsa_user_sgpr_count 6
		.amdhsa_user_sgpr_private_segment_buffer 1
		.amdhsa_user_sgpr_dispatch_ptr 0
		.amdhsa_user_sgpr_queue_ptr 0
		.amdhsa_user_sgpr_kernarg_segment_ptr 1
		.amdhsa_user_sgpr_dispatch_id 0
		.amdhsa_user_sgpr_flat_scratch_init 0
		.amdhsa_user_sgpr_private_segment_size 0
		.amdhsa_wavefront_size32 1
		.amdhsa_uses_dynamic_stack 0
		.amdhsa_system_sgpr_private_segment_wavefront_offset 0
		.amdhsa_system_sgpr_workgroup_id_x 1
		.amdhsa_system_sgpr_workgroup_id_y 0
		.amdhsa_system_sgpr_workgroup_id_z 0
		.amdhsa_system_sgpr_workgroup_info 0
		.amdhsa_system_vgpr_workitem_id 0
		.amdhsa_next_free_vgpr 19
		.amdhsa_next_free_sgpr 49
		.amdhsa_reserve_vcc 1
		.amdhsa_reserve_flat_scratch 0
		.amdhsa_float_round_mode_32 0
		.amdhsa_float_round_mode_16_64 0
		.amdhsa_float_denorm_mode_32 3
		.amdhsa_float_denorm_mode_16_64 3
		.amdhsa_dx10_clamp 1
		.amdhsa_ieee_mode 1
		.amdhsa_fp16_overflow 0
		.amdhsa_workgroup_processor_mode 1
		.amdhsa_memory_ordered 1
		.amdhsa_forward_progress 1
		.amdhsa_shared_vgpr_count 0
		.amdhsa_exception_fp_ieee_invalid_op 0
		.amdhsa_exception_fp_denorm_src 0
		.amdhsa_exception_fp_ieee_div_zero 0
		.amdhsa_exception_fp_ieee_overflow 0
		.amdhsa_exception_fp_ieee_underflow 0
		.amdhsa_exception_fp_ieee_inexact 0
		.amdhsa_exception_int_div_zero 0
	.end_amdhsa_kernel
	.section	.text._ZN2at6native12_GLOBAL__N_144conv_depthwise3d_cuda_backward_weight_kernelIffLin1ELin1EEEvN5torch10headeronly6detail27GenericPackedTensorAccessorINS5_14TensorAccessorIN3c108ArrayRefIlEEKT_Lm4ENS4_16DefaultPtrTraitsEiEENS_6detail16IndexBoundsCheckILm5EiEESC_Lm5ESD_iEESI_NS6_INS7_ISA_SB_Lm4ESD_iEESH_SB_Lm5ESD_iEEiiiiiiiii,"axG",@progbits,_ZN2at6native12_GLOBAL__N_144conv_depthwise3d_cuda_backward_weight_kernelIffLin1ELin1EEEvN5torch10headeronly6detail27GenericPackedTensorAccessorINS5_14TensorAccessorIN3c108ArrayRefIlEEKT_Lm4ENS4_16DefaultPtrTraitsEiEENS_6detail16IndexBoundsCheckILm5EiEESC_Lm5ESD_iEESI_NS6_INS7_ISA_SB_Lm4ESD_iEESH_SB_Lm5ESD_iEEiiiiiiiii,comdat
.Lfunc_end37:
	.size	_ZN2at6native12_GLOBAL__N_144conv_depthwise3d_cuda_backward_weight_kernelIffLin1ELin1EEEvN5torch10headeronly6detail27GenericPackedTensorAccessorINS5_14TensorAccessorIN3c108ArrayRefIlEEKT_Lm4ENS4_16DefaultPtrTraitsEiEENS_6detail16IndexBoundsCheckILm5EiEESC_Lm5ESD_iEESI_NS6_INS7_ISA_SB_Lm4ESD_iEESH_SB_Lm5ESD_iEEiiiiiiiii, .Lfunc_end37-_ZN2at6native12_GLOBAL__N_144conv_depthwise3d_cuda_backward_weight_kernelIffLin1ELin1EEEvN5torch10headeronly6detail27GenericPackedTensorAccessorINS5_14TensorAccessorIN3c108ArrayRefIlEEKT_Lm4ENS4_16DefaultPtrTraitsEiEENS_6detail16IndexBoundsCheckILm5EiEESC_Lm5ESD_iEESI_NS6_INS7_ISA_SB_Lm4ESD_iEESH_SB_Lm5ESD_iEEiiiiiiiii
                                        ; -- End function
	.set _ZN2at6native12_GLOBAL__N_144conv_depthwise3d_cuda_backward_weight_kernelIffLin1ELin1EEEvN5torch10headeronly6detail27GenericPackedTensorAccessorINS5_14TensorAccessorIN3c108ArrayRefIlEEKT_Lm4ENS4_16DefaultPtrTraitsEiEENS_6detail16IndexBoundsCheckILm5EiEESC_Lm5ESD_iEESI_NS6_INS7_ISA_SB_Lm4ESD_iEESH_SB_Lm5ESD_iEEiiiiiiiii.num_vgpr, 19
	.set _ZN2at6native12_GLOBAL__N_144conv_depthwise3d_cuda_backward_weight_kernelIffLin1ELin1EEEvN5torch10headeronly6detail27GenericPackedTensorAccessorINS5_14TensorAccessorIN3c108ArrayRefIlEEKT_Lm4ENS4_16DefaultPtrTraitsEiEENS_6detail16IndexBoundsCheckILm5EiEESC_Lm5ESD_iEESI_NS6_INS7_ISA_SB_Lm4ESD_iEESH_SB_Lm5ESD_iEEiiiiiiiii.num_agpr, 0
	.set _ZN2at6native12_GLOBAL__N_144conv_depthwise3d_cuda_backward_weight_kernelIffLin1ELin1EEEvN5torch10headeronly6detail27GenericPackedTensorAccessorINS5_14TensorAccessorIN3c108ArrayRefIlEEKT_Lm4ENS4_16DefaultPtrTraitsEiEENS_6detail16IndexBoundsCheckILm5EiEESC_Lm5ESD_iEESI_NS6_INS7_ISA_SB_Lm4ESD_iEESH_SB_Lm5ESD_iEEiiiiiiiii.numbered_sgpr, 49
	.set _ZN2at6native12_GLOBAL__N_144conv_depthwise3d_cuda_backward_weight_kernelIffLin1ELin1EEEvN5torch10headeronly6detail27GenericPackedTensorAccessorINS5_14TensorAccessorIN3c108ArrayRefIlEEKT_Lm4ENS4_16DefaultPtrTraitsEiEENS_6detail16IndexBoundsCheckILm5EiEESC_Lm5ESD_iEESI_NS6_INS7_ISA_SB_Lm4ESD_iEESH_SB_Lm5ESD_iEEiiiiiiiii.num_named_barrier, 0
	.set _ZN2at6native12_GLOBAL__N_144conv_depthwise3d_cuda_backward_weight_kernelIffLin1ELin1EEEvN5torch10headeronly6detail27GenericPackedTensorAccessorINS5_14TensorAccessorIN3c108ArrayRefIlEEKT_Lm4ENS4_16DefaultPtrTraitsEiEENS_6detail16IndexBoundsCheckILm5EiEESC_Lm5ESD_iEESI_NS6_INS7_ISA_SB_Lm4ESD_iEESH_SB_Lm5ESD_iEEiiiiiiiii.private_seg_size, 0
	.set _ZN2at6native12_GLOBAL__N_144conv_depthwise3d_cuda_backward_weight_kernelIffLin1ELin1EEEvN5torch10headeronly6detail27GenericPackedTensorAccessorINS5_14TensorAccessorIN3c108ArrayRefIlEEKT_Lm4ENS4_16DefaultPtrTraitsEiEENS_6detail16IndexBoundsCheckILm5EiEESC_Lm5ESD_iEESI_NS6_INS7_ISA_SB_Lm4ESD_iEESH_SB_Lm5ESD_iEEiiiiiiiii.uses_vcc, 1
	.set _ZN2at6native12_GLOBAL__N_144conv_depthwise3d_cuda_backward_weight_kernelIffLin1ELin1EEEvN5torch10headeronly6detail27GenericPackedTensorAccessorINS5_14TensorAccessorIN3c108ArrayRefIlEEKT_Lm4ENS4_16DefaultPtrTraitsEiEENS_6detail16IndexBoundsCheckILm5EiEESC_Lm5ESD_iEESI_NS6_INS7_ISA_SB_Lm4ESD_iEESH_SB_Lm5ESD_iEEiiiiiiiii.uses_flat_scratch, 0
	.set _ZN2at6native12_GLOBAL__N_144conv_depthwise3d_cuda_backward_weight_kernelIffLin1ELin1EEEvN5torch10headeronly6detail27GenericPackedTensorAccessorINS5_14TensorAccessorIN3c108ArrayRefIlEEKT_Lm4ENS4_16DefaultPtrTraitsEiEENS_6detail16IndexBoundsCheckILm5EiEESC_Lm5ESD_iEESI_NS6_INS7_ISA_SB_Lm4ESD_iEESH_SB_Lm5ESD_iEEiiiiiiiii.has_dyn_sized_stack, 0
	.set _ZN2at6native12_GLOBAL__N_144conv_depthwise3d_cuda_backward_weight_kernelIffLin1ELin1EEEvN5torch10headeronly6detail27GenericPackedTensorAccessorINS5_14TensorAccessorIN3c108ArrayRefIlEEKT_Lm4ENS4_16DefaultPtrTraitsEiEENS_6detail16IndexBoundsCheckILm5EiEESC_Lm5ESD_iEESI_NS6_INS7_ISA_SB_Lm4ESD_iEESH_SB_Lm5ESD_iEEiiiiiiiii.has_recursion, 0
	.set _ZN2at6native12_GLOBAL__N_144conv_depthwise3d_cuda_backward_weight_kernelIffLin1ELin1EEEvN5torch10headeronly6detail27GenericPackedTensorAccessorINS5_14TensorAccessorIN3c108ArrayRefIlEEKT_Lm4ENS4_16DefaultPtrTraitsEiEENS_6detail16IndexBoundsCheckILm5EiEESC_Lm5ESD_iEESI_NS6_INS7_ISA_SB_Lm4ESD_iEESH_SB_Lm5ESD_iEEiiiiiiiii.has_indirect_call, 0
	.section	.AMDGPU.csdata,"",@progbits
; Kernel info:
; codeLenInByte = 1964
; TotalNumSgprs: 51
; NumVgprs: 19
; ScratchSize: 0
; MemoryBound: 0
; FloatMode: 240
; IeeeMode: 1
; LDSByteSize: 0 bytes/workgroup (compile time only)
; SGPRBlocks: 0
; VGPRBlocks: 2
; NumSGPRsForWavesPerEU: 51
; NumVGPRsForWavesPerEU: 19
; Occupancy: 16
; WaveLimiterHint : 1
; COMPUTE_PGM_RSRC2:SCRATCH_EN: 0
; COMPUTE_PGM_RSRC2:USER_SGPR: 6
; COMPUTE_PGM_RSRC2:TRAP_HANDLER: 0
; COMPUTE_PGM_RSRC2:TGID_X_EN: 1
; COMPUTE_PGM_RSRC2:TGID_Y_EN: 0
; COMPUTE_PGM_RSRC2:TGID_Z_EN: 0
; COMPUTE_PGM_RSRC2:TIDIG_COMP_CNT: 0
	.section	.text._ZN2at6native12_GLOBAL__N_144conv_depthwise3d_cuda_backward_weight_kernelIN3c104HalfEfLi1ELi1EEEvN5torch10headeronly6detail27GenericPackedTensorAccessorINS7_14TensorAccessorINS3_8ArrayRefIlEEKT_Lm4ENS6_16DefaultPtrTraitsEiEENS_6detail16IndexBoundsCheckILm5EiEESD_Lm5ESE_iEESJ_NS8_INS9_ISB_SC_Lm4ESE_iEESI_SC_Lm5ESE_iEEiiiiiiiii,"axG",@progbits,_ZN2at6native12_GLOBAL__N_144conv_depthwise3d_cuda_backward_weight_kernelIN3c104HalfEfLi1ELi1EEEvN5torch10headeronly6detail27GenericPackedTensorAccessorINS7_14TensorAccessorINS3_8ArrayRefIlEEKT_Lm4ENS6_16DefaultPtrTraitsEiEENS_6detail16IndexBoundsCheckILm5EiEESD_Lm5ESE_iEESJ_NS8_INS9_ISB_SC_Lm4ESE_iEESI_SC_Lm5ESE_iEEiiiiiiiii,comdat
	.globl	_ZN2at6native12_GLOBAL__N_144conv_depthwise3d_cuda_backward_weight_kernelIN3c104HalfEfLi1ELi1EEEvN5torch10headeronly6detail27GenericPackedTensorAccessorINS7_14TensorAccessorINS3_8ArrayRefIlEEKT_Lm4ENS6_16DefaultPtrTraitsEiEENS_6detail16IndexBoundsCheckILm5EiEESD_Lm5ESE_iEESJ_NS8_INS9_ISB_SC_Lm4ESE_iEESI_SC_Lm5ESE_iEEiiiiiiiii ; -- Begin function _ZN2at6native12_GLOBAL__N_144conv_depthwise3d_cuda_backward_weight_kernelIN3c104HalfEfLi1ELi1EEEvN5torch10headeronly6detail27GenericPackedTensorAccessorINS7_14TensorAccessorINS3_8ArrayRefIlEEKT_Lm4ENS6_16DefaultPtrTraitsEiEENS_6detail16IndexBoundsCheckILm5EiEESD_Lm5ESE_iEESJ_NS8_INS9_ISB_SC_Lm4ESE_iEESI_SC_Lm5ESE_iEEiiiiiiiii
	.p2align	8
	.type	_ZN2at6native12_GLOBAL__N_144conv_depthwise3d_cuda_backward_weight_kernelIN3c104HalfEfLi1ELi1EEEvN5torch10headeronly6detail27GenericPackedTensorAccessorINS7_14TensorAccessorINS3_8ArrayRefIlEEKT_Lm4ENS6_16DefaultPtrTraitsEiEENS_6detail16IndexBoundsCheckILm5EiEESD_Lm5ESE_iEESJ_NS8_INS9_ISB_SC_Lm4ESE_iEESI_SC_Lm5ESE_iEEiiiiiiiii,@function
_ZN2at6native12_GLOBAL__N_144conv_depthwise3d_cuda_backward_weight_kernelIN3c104HalfEfLi1ELi1EEEvN5torch10headeronly6detail27GenericPackedTensorAccessorINS7_14TensorAccessorINS3_8ArrayRefIlEEKT_Lm4ENS6_16DefaultPtrTraitsEiEENS_6detail16IndexBoundsCheckILm5EiEESD_Lm5ESE_iEESJ_NS8_INS9_ISB_SC_Lm4ESE_iEESI_SC_Lm5ESE_iEEiiiiiiiii: ; @_ZN2at6native12_GLOBAL__N_144conv_depthwise3d_cuda_backward_weight_kernelIN3c104HalfEfLi1ELi1EEEvN5torch10headeronly6detail27GenericPackedTensorAccessorINS7_14TensorAccessorINS3_8ArrayRefIlEEKT_Lm4ENS6_16DefaultPtrTraitsEiEENS_6detail16IndexBoundsCheckILm5EiEESD_Lm5ESE_iEESJ_NS8_INS9_ISB_SC_Lm4ESE_iEESI_SC_Lm5ESE_iEEiiiiiiiii
; %bb.0:
	s_load_dwordx4 s[0:3], s[4:5], 0x70
	s_add_u32 s8, s4, 0x60
	s_addc_u32 s9, s5, 0
	s_waitcnt lgkmcnt(0)
	v_cvt_f32_u32_e32 v1, s2
	v_cvt_f32_u32_e32 v2, s1
	s_sub_i32 s10, 0, s2
	v_rcp_iflag_f32_e32 v1, v1
	v_rcp_iflag_f32_e32 v2, v2
	v_mul_f32_e32 v1, 0x4f7ffffe, v1
	v_mul_f32_e32 v2, 0x4f7ffffe, v2
	v_cvt_u32_f32_e32 v1, v1
	v_cvt_u32_f32_e32 v2, v2
	v_readfirstlane_b32 s7, v1
	v_cvt_f32_u32_e32 v1, s0
	v_readfirstlane_b32 s13, v2
	s_mul_i32 s10, s10, s7
	v_rcp_iflag_f32_e32 v1, v1
	s_mul_hi_u32 s10, s7, s10
	s_add_i32 s7, s7, s10
	s_mul_hi_u32 s7, s6, s7
	s_mul_i32 s10, s7, s2
	s_add_i32 s11, s7, 1
	s_sub_i32 s10, s6, s10
	v_mul_f32_e32 v1, 0x4f7ffffe, v1
	s_sub_i32 s12, s10, s2
	s_cmp_ge_u32 s10, s2
	s_cselect_b32 s7, s11, s7
	s_cselect_b32 s10, s12, s10
	s_add_i32 s11, s7, 1
	s_cmp_ge_u32 s10, s2
	v_cvt_u32_f32_e32 v1, v1
	s_cselect_b32 s20, s11, s7
	s_sub_i32 s7, 0, s1
	s_mul_i32 s7, s7, s13
	v_readfirstlane_b32 s16, v1
	s_mul_hi_u32 s7, s13, s7
	s_add_i32 s13, s13, s7
	s_mul_hi_u32 s7, s20, s13
	s_mul_i32 s10, s7, s1
	s_add_i32 s11, s7, 1
	s_sub_i32 s10, s20, s10
	s_sub_i32 s12, s10, s1
	s_cmp_ge_u32 s10, s1
	s_cselect_b32 s7, s11, s7
	s_cselect_b32 s10, s12, s10
	s_add_i32 s11, s7, 1
	s_cmp_ge_u32 s10, s1
	s_load_dwordx4 s[12:15], s[4:5], 0x3c
	s_cselect_b32 s21, s11, s7
	s_sub_i32 s7, 0, s0
	s_mul_i32 s7, s7, s16
	s_mul_hi_u32 s7, s16, s7
	s_add_i32 s16, s16, s7
	s_mul_hi_u32 s7, s21, s16
	s_mul_i32 s10, s7, s0
	s_add_i32 s11, s7, 1
	s_sub_i32 s10, s21, s10
	s_sub_i32 s16, s10, s0
	s_cmp_ge_u32 s10, s0
	s_cselect_b32 s7, s11, s7
	s_cselect_b32 s10, s16, s10
	s_add_i32 s11, s7, 1
	s_cmp_ge_u32 s10, s0
	s_load_dwordx4 s[16:19], s[4:5], 0xc
	s_cselect_b32 s7, s11, s7
	s_waitcnt lgkmcnt(0)
	s_abs_i32 s10, s12
	v_cvt_f32_u32_e32 v1, s10
	s_sub_i32 s22, 0, s10
	v_rcp_iflag_f32_e32 v1, v1
	v_mul_f32_e32 v1, 0x4f7ffffe, v1
	s_abs_i32 s23, s16
	s_xor_b32 s12, s16, s12
	s_ashr_i32 s12, s12, 31
	v_cvt_u32_f32_e32 v1, v1
	v_readfirstlane_b32 s11, v1
	s_mul_i32 s22, s22, s11
	s_mul_hi_u32 s22, s11, s22
	s_add_i32 s11, s11, s22
	s_mul_hi_u32 s11, s23, s11
	s_mul_i32 s16, s11, s10
	s_add_i32 s22, s11, 1
	s_sub_i32 s16, s23, s16
	s_sub_i32 s23, s16, s10
	s_cmp_ge_u32 s16, s10
	s_cselect_b32 s11, s22, s11
	s_cselect_b32 s16, s23, s16
	s_add_i32 s22, s11, 1
	s_cmp_ge_u32 s16, s10
	s_cselect_b32 s10, s22, s11
	s_xor_b32 s10, s10, s12
	s_sub_i32 s22, s10, s12
	s_load_dword s10, s[4:5], 0x68
	s_abs_i32 s39, s22
	v_cvt_f32_u32_e32 v1, s39
	v_rcp_iflag_f32_e32 v1, v1
	v_mul_f32_e32 v1, 0x4f7ffffe, v1
	s_waitcnt lgkmcnt(0)
	s_cmp_ge_i32 s7, s10
	v_cvt_u32_f32_e32 v1, v1
	v_readfirstlane_b32 s23, v1
	s_cbranch_scc1 .LBB38_28
; %bb.1:
	s_clause 0x1
	s_load_dword s36, s[4:5], 0x38
	s_load_dword s24, s[4:5], 0xc4
	s_clause 0x1
	s_load_dwordx2 s[34:35], s[8:9], 0x0
	s_load_dwordx4 s[8:11], s[8:9], 0x24
	v_lshrrev_b32_e32 v4, 5, v0
	v_mov_b32_e32 v2, 0
	s_mul_i32 s2, s20, s2
	s_mul_i32 s1, s21, s1
	;; [unrolled: 1-line block ×3, first 2 shown]
	s_sub_i32 s6, s6, s2
	s_sub_i32 s12, s20, s1
	;; [unrolled: 1-line block ×3, first 2 shown]
	s_mov_b32 s37, exec_lo
	s_waitcnt lgkmcnt(0)
	s_mul_i32 s36, s36, s17
	s_and_b32 s33, s24, 0xffff
	v_cmpx_gt_i32_e64 s36, v4
	s_cbranch_execz .LBB38_23
; %bb.2:
	s_sub_i32 s0, 0, s39
	s_abs_i32 s25, s7
	s_mul_i32 s0, s0, s23
	s_ashr_i32 s24, s22, 31
	s_mul_hi_u32 s0, s23, s0
	s_ashr_i32 s2, s7, 31
	s_add_i32 s23, s23, s0
	s_xor_b32 s2, s2, s24
	s_mul_hi_u32 s40, s25, s23
	s_clause 0x2
	s_load_dwordx4 s[28:31], s[4:5], 0x9c
	s_load_dwordx2 s[0:1], s[4:5], 0x0
	s_load_dwordx4 s[20:23], s[4:5], 0x1c
	s_waitcnt lgkmcnt(0)
	s_mul_i32 s23, s40, s39
	s_lshr_b32 s38, s33, 5
	s_sub_i32 s23, s25, s23
	s_load_dwordx4 s[24:27], s[4:5], 0x4c
	s_add_i32 s41, s40, 1
	s_sub_i32 s42, s23, s39
	s_cmp_ge_u32 s23, s39
	v_mov_b32_e32 v10, 0
	s_waitcnt lgkmcnt(0)
	s_cselect_b32 s27, s41, s40
	s_load_dwordx2 s[40:41], s[4:5], 0x30
	s_cselect_b32 s23, s42, s23
	s_add_i32 s42, s27, 1
	s_cmp_ge_u32 s23, s39
	s_cselect_b32 s23, s42, s27
	s_load_dwordx2 s[42:43], s[4:5], 0xac
	s_xor_b32 s23, s23, s2
	s_abs_i32 s39, s17
	s_sub_i32 s2, s23, s2
	s_mul_i32 s4, s21, s7
	s_mul_i32 s21, s16, s31
	s_ashr_i32 s5, s4, 31
	s_ashr_i32 s27, s17, 31
	s_lshl_b64 s[44:45], s[4:5], 1
	s_sub_i32 s46, 0, s39
	s_sub_i32 s4, s21, s28
	v_cvt_f32_u32_e32 v1, s39
	s_add_u32 s5, s0, s44
	s_mul_i32 s0, s25, s2
	s_addc_u32 s21, s1, s45
	s_ashr_i32 s1, s0, 31
	v_rcp_iflag_f32_e32 v1, v1
	s_lshl_b64 s[0:1], s[0:1], 1
	s_waitcnt lgkmcnt(0)
	s_add_u32 s23, s40, s0
	s_addc_u32 s25, s41, s1
	s_abs_i32 s1, s19
	v_cvt_f32_u32_e32 v2, s1
	s_sub_i32 s0, 0, s1
	v_mul_f32_e32 v1, 0x4f7ffffe, v1
	v_rcp_iflag_f32_e32 v2, v2
	v_cvt_u32_f32_e32 v1, v1
	v_mul_lo_u32 v3, s46, v1
	v_mul_f32_e32 v2, 0x4f7ffffe, v2
	v_cvt_u32_f32_e32 v2, v2
	v_mul_hi_u32 v3, v1, v3
	v_mul_lo_u32 v5, s0, v2
	v_add_nc_u32_e32 v1, v1, v3
	v_and_b32_e32 v3, 31, v0
	v_mul_hi_u32 v5, v2, v5
	v_mul_hi_u32 v1, v4, v1
	v_add_nc_u32_e32 v2, v2, v5
	v_mul_lo_u32 v5, v1, s39
	v_add_nc_u32_e32 v7, 1, v1
	v_mul_hi_u32 v2, v3, v2
	v_sub_nc_u32_e32 v5, v4, v5
	v_mul_lo_u32 v6, v2, s1
	v_cmp_le_u32_e32 vcc_lo, s39, v5
	v_add_nc_u32_e32 v8, 1, v2
	v_cndmask_b32_e32 v1, v1, v7, vcc_lo
	v_subrev_nc_u32_e32 v7, s39, v5
	v_sub_nc_u32_e32 v6, v3, v6
	v_cndmask_b32_e32 v5, v5, v7, vcc_lo
	v_subrev_nc_u32_e32 v9, s1, v6
	v_cmp_le_u32_e64 s0, s1, v6
	v_add_nc_u32_e32 v7, 1, v1
	v_cmp_le_u32_e32 vcc_lo, s39, v5
	v_cndmask_b32_e64 v2, v2, v8, s0
	v_cndmask_b32_e64 v6, v6, v9, s0
	s_ashr_i32 s0, s19, 31
	v_cndmask_b32_e32 v1, v1, v7, vcc_lo
	v_mov_b32_e32 v7, 0
	v_add_nc_u32_e32 v8, 1, v2
	v_cmp_le_u32_e32 vcc_lo, s1, v6
	s_mul_i32 s1, s12, s42
	v_xor_b32_e32 v1, s27, v1
	s_sub_i32 s29, s1, s29
	v_cndmask_b32_e32 v2, v2, v8, vcc_lo
	v_lshlrev_b32_e32 v8, 1, v3
	v_subrev_nc_u32_e32 v5, s27, v1
	s_mov_b32 s27, 0
	v_xor_b32_e32 v2, s0, v2
	v_mul_lo_u32 v1, v5, s17
	v_subrev_nc_u32_e32 v6, s0, v2
	s_mul_i32 s0, s6, s43
	s_sub_i32 s28, s0, s30
	v_mul_lo_u32 v2, v6, s19
	v_sub_nc_u32_e32 v9, v4, v1
	v_cmp_gt_i32_e32 vcc_lo, s18, v6
	v_sub_nc_u32_e32 v11, v3, v2
	s_branch .LBB38_6
.LBB38_3:                               ;   in Loop: Header=BB38_6 Depth=1
	s_or_b32 exec_lo, exec_lo, s39
.LBB38_4:                               ;   in Loop: Header=BB38_6 Depth=1
	s_or_b32 exec_lo, exec_lo, s31
.LBB38_5:                               ;   in Loop: Header=BB38_6 Depth=1
	s_or_b32 exec_lo, exec_lo, s30
	v_add_nc_u32_e32 v4, s38, v4
	v_add_nc_u32_e32 v9, s38, v9
	v_cmp_le_i32_e64 s0, s36, v4
	s_or_b32 s27, s0, s27
	s_andn2_b32 exec_lo, exec_lo, s27
	s_cbranch_execz .LBB38_22
.LBB38_6:                               ; =>This Loop Header: Depth=1
                                        ;     Child Loop BB38_8 Depth 2
                                        ;     Child Loop BB38_14 Depth 2
                                        ;       Child Loop BB38_20 Depth 3
	s_mov_b32 s1, exec_lo
	v_cmpx_le_i32_e64 s17, v9
	s_cbranch_execz .LBB38_10
; %bb.7:                                ;   in Loop: Header=BB38_6 Depth=1
	s_mov_b32 s2, 0
.LBB38_8:                               ;   Parent Loop BB38_6 Depth=1
                                        ; =>  This Inner Loop Header: Depth=2
	v_subrev_nc_u32_e32 v9, s17, v9
	v_add_nc_u32_e32 v5, 1, v5
	v_cmp_gt_i32_e64 s0, s17, v9
	s_or_b32 s2, s0, s2
	s_andn2_b32 exec_lo, exec_lo, s2
	s_cbranch_execnz .LBB38_8
; %bb.9:                                ;   in Loop: Header=BB38_6 Depth=1
	s_or_b32 exec_lo, exec_lo, s2
.LBB38_10:                              ;   in Loop: Header=BB38_6 Depth=1
	s_or_b32 exec_lo, exec_lo, s1
	v_mad_u64_u32 v[1:2], null, v9, s11, s[4:5]
	v_cmp_lt_i32_e64 s0, -1, v1
	v_cmp_gt_i32_e64 s1, s13, v1
	s_and_b32 s0, s0, s1
	s_and_saveexec_b32 s30, s0
	s_cbranch_execz .LBB38_5
; %bb.11:                               ;   in Loop: Header=BB38_6 Depth=1
	s_and_saveexec_b32 s31, vcc_lo
	s_cbranch_execz .LBB38_4
; %bb.12:                               ;   in Loop: Header=BB38_6 Depth=1
	v_mul_lo_u32 v2, s20, v5
	v_mul_lo_u32 v12, s24, v5
	;; [unrolled: 1-line block ×4, first 2 shown]
	s_mov_b32 s39, 0
	v_ashrrev_i32_e32 v3, 31, v2
	v_ashrrev_i32_e32 v13, 31, v12
	v_ashrrev_i32_e32 v17, 31, v16
	v_ashrrev_i32_e32 v15, 31, v14
	v_lshlrev_b64 v[1:2], 1, v[2:3]
	v_lshlrev_b64 v[12:13], 1, v[12:13]
	v_lshlrev_b64 v[16:17], 1, v[16:17]
	v_lshlrev_b64 v[14:15], 1, v[14:15]
	v_add_co_u32 v1, s0, s5, v1
	v_add_co_ci_u32_e64 v2, null, s21, v2, s0
	v_add_co_u32 v3, s0, s23, v12
	v_add_co_ci_u32_e64 v13, null, s25, v13, s0
	v_add_co_u32 v1, s0, v1, v16
	v_add_co_ci_u32_e64 v2, null, v2, v17, s0
	v_add_co_u32 v12, s0, v3, v14
	v_add_co_ci_u32_e64 v13, null, v13, v15, s0
	v_add_co_u32 v1, s0, v1, v8
	v_add_co_ci_u32_e64 v2, null, 0, v2, s0
	v_mov_b32_e32 v14, v11
	v_mov_b32_e32 v15, v6
	s_branch .LBB38_14
.LBB38_13:                              ;   in Loop: Header=BB38_14 Depth=2
	s_or_b32 exec_lo, exec_lo, s1
	v_cmp_le_i32_e64 s0, s18, v15
	v_add_co_u32 v1, s1, v1, 64
	v_add_co_ci_u32_e64 v2, null, 0, v2, s1
	s_waitcnt vmcnt(0)
	v_fma_mix_f32 v10, v17, v16, v10 op_sel_hi:[0,1,0]
	s_or_b32 s39, s0, s39
	s_andn2_b32 exec_lo, exec_lo, s39
	s_cbranch_execz .LBB38_3
.LBB38_14:                              ;   Parent Loop BB38_6 Depth=1
                                        ; =>  This Loop Header: Depth=2
                                        ;       Child Loop BB38_20 Depth 3
	global_load_ushort v16, v[1:2], off
	v_add_nc_u32_e32 v3, s28, v14
	v_mov_b32_e32 v17, 0
	s_mov_b32 s40, exec_lo
	v_cmpx_lt_i32_e32 -1, v3
	s_cbranch_execz .LBB38_18
; %bb.15:                               ;   in Loop: Header=BB38_14 Depth=2
	v_add_nc_u32_e32 v18, s29, v15
	v_cmp_gt_i32_e64 s0, s15, v3
	v_mov_b32_e32 v17, 0
	v_cmp_gt_i32_e64 s1, s14, v18
	v_cmp_lt_i32_e64 s2, -1, v18
	s_and_b32 s0, s0, s1
	s_and_b32 s0, s0, s2
	s_and_saveexec_b32 s1, s0
	s_cbranch_execz .LBB38_17
; %bb.16:                               ;   in Loop: Header=BB38_14 Depth=2
	v_mad_u64_u32 v[17:18], null, v18, s15, v[3:4]
	v_mov_b32_e32 v18, v7
	v_lshlrev_b64 v[17:18], 1, v[17:18]
	v_add_co_u32 v17, s0, v12, v17
	v_add_co_ci_u32_e64 v18, null, v13, v18, s0
	global_load_ushort v3, v[17:18], off
	s_waitcnt vmcnt(0)
	v_cvt_f32_f16_e32 v17, v3
.LBB38_17:                              ;   in Loop: Header=BB38_14 Depth=2
	s_or_b32 exec_lo, exec_lo, s1
.LBB38_18:                              ;   in Loop: Header=BB38_14 Depth=2
	s_or_b32 exec_lo, exec_lo, s40
	v_add_nc_u32_e32 v14, 32, v14
	s_mov_b32 s1, exec_lo
	v_cmpx_le_i32_e64 s19, v14
	s_cbranch_execz .LBB38_13
; %bb.19:                               ;   in Loop: Header=BB38_14 Depth=2
	s_mov_b32 s2, 0
.LBB38_20:                              ;   Parent Loop BB38_6 Depth=1
                                        ;     Parent Loop BB38_14 Depth=2
                                        ; =>    This Inner Loop Header: Depth=3
	v_subrev_nc_u32_e32 v14, s19, v14
	v_add_nc_u32_e32 v15, 1, v15
	v_cmp_gt_i32_e64 s0, s19, v14
	s_or_b32 s2, s0, s2
	s_andn2_b32 exec_lo, exec_lo, s2
	s_cbranch_execnz .LBB38_20
; %bb.21:                               ;   in Loop: Header=BB38_14 Depth=2
	s_or_b32 exec_lo, exec_lo, s2
	s_branch .LBB38_13
.LBB38_22:
	s_or_b32 exec_lo, exec_lo, s27
	v_cvt_f16_f32_e32 v2, v10
.LBB38_23:
	s_or_b32 exec_lo, exec_lo, s37
	v_lshl_add_u32 v1, v0, 1, 0
	s_bcnt1_i32_b32 s0, s33
	s_cmp_lg_u32 s0, 1
	s_mov_b32 s0, -1
	ds_write_b16 v1, v2
	s_waitcnt lgkmcnt(0)
	s_barrier
	buffer_gl0_inv
	s_cbranch_scc1 .LBB38_32
; %bb.24:
	s_andn2_b32 vcc_lo, exec_lo, s0
	s_cbranch_vccnz .LBB38_28
.LBB38_25:
	s_cmp_lt_u32 s33, 2
	s_cbranch_scc0 .LBB38_30
.LBB38_26:
	s_mov_b32 s0, exec_lo
	v_cmpx_eq_u32_e32 0, v0
	s_cbranch_execz .LBB38_28
; %bb.27:
	s_mul_i32 s0, s3, s7
	v_mov_b32_e32 v0, 0
	s_ashr_i32 s1, s0, 31
	s_mul_i32 s2, s8, s16
	s_lshl_b64 s[0:1], s[0:1], 1
	ds_read_u16 v1, v0
	s_add_u32 s4, s34, s0
	s_addc_u32 s5, s35, s1
	s_ashr_i32 s3, s2, 31
	s_lshl_b64 s[0:1], s[2:3], 1
	s_mul_i32 s2, s9, s12
	s_add_u32 s4, s4, s0
	s_addc_u32 s5, s5, s1
	s_ashr_i32 s3, s2, 31
	s_lshl_b64 s[0:1], s[2:3], 1
	s_add_u32 s2, s4, s0
	s_mul_i32 s0, s10, s6
	s_addc_u32 s3, s5, s1
	s_ashr_i32 s1, s0, 31
	s_lshl_b64 s[0:1], s[0:1], 1
	s_add_u32 s0, s2, s0
	s_addc_u32 s1, s3, s1
	s_waitcnt lgkmcnt(0)
	global_store_short v0, v1, s[0:1]
.LBB38_28:
	s_endpgm
	.p2align	6
.LBB38_29:                              ;   in Loop: Header=BB38_30 Depth=1
	s_or_b32 exec_lo, exec_lo, s1
	s_cmp_lt_u32 s33, 4
	s_mov_b32 s33, s0
	s_waitcnt lgkmcnt(0)
	s_barrier
	buffer_gl0_inv
	s_cbranch_scc1 .LBB38_26
.LBB38_30:                              ; =>This Inner Loop Header: Depth=1
	s_lshr_b32 s0, s33, 1
	s_mov_b32 s1, exec_lo
	v_cmpx_gt_u32_e64 s0, v0
	s_cbranch_execz .LBB38_29
; %bb.31:                               ;   in Loop: Header=BB38_30 Depth=1
	v_lshl_add_u32 v2, s0, 1, v1
	ds_read_u16 v2, v2
	ds_read_u16 v3, v1
	s_waitcnt lgkmcnt(0)
	v_add_f16_e32 v2, v2, v3
	ds_write_b16 v1, v2
	s_branch .LBB38_29
.LBB38_32:
	s_trap 2
	; divergent unreachable
	s_cbranch_execz .LBB38_25
	s_branch .LBB38_28
	.section	.rodata,"a",@progbits
	.p2align	6, 0x0
	.amdhsa_kernel _ZN2at6native12_GLOBAL__N_144conv_depthwise3d_cuda_backward_weight_kernelIN3c104HalfEfLi1ELi1EEEvN5torch10headeronly6detail27GenericPackedTensorAccessorINS7_14TensorAccessorINS3_8ArrayRefIlEEKT_Lm4ENS6_16DefaultPtrTraitsEiEENS_6detail16IndexBoundsCheckILm5EiEESD_Lm5ESE_iEESJ_NS8_INS9_ISB_SC_Lm4ESE_iEESI_SC_Lm5ESE_iEEiiiiiiiii
		.amdhsa_group_segment_fixed_size 0
		.amdhsa_private_segment_fixed_size 0
		.amdhsa_kernarg_size 440
		.amdhsa_user_sgpr_count 6
		.amdhsa_user_sgpr_private_segment_buffer 1
		.amdhsa_user_sgpr_dispatch_ptr 0
		.amdhsa_user_sgpr_queue_ptr 0
		.amdhsa_user_sgpr_kernarg_segment_ptr 1
		.amdhsa_user_sgpr_dispatch_id 0
		.amdhsa_user_sgpr_flat_scratch_init 0
		.amdhsa_user_sgpr_private_segment_size 0
		.amdhsa_wavefront_size32 1
		.amdhsa_uses_dynamic_stack 0
		.amdhsa_system_sgpr_private_segment_wavefront_offset 0
		.amdhsa_system_sgpr_workgroup_id_x 1
		.amdhsa_system_sgpr_workgroup_id_y 0
		.amdhsa_system_sgpr_workgroup_id_z 0
		.amdhsa_system_sgpr_workgroup_info 0
		.amdhsa_system_vgpr_workitem_id 0
		.amdhsa_next_free_vgpr 19
		.amdhsa_next_free_sgpr 47
		.amdhsa_reserve_vcc 1
		.amdhsa_reserve_flat_scratch 0
		.amdhsa_float_round_mode_32 0
		.amdhsa_float_round_mode_16_64 0
		.amdhsa_float_denorm_mode_32 3
		.amdhsa_float_denorm_mode_16_64 3
		.amdhsa_dx10_clamp 1
		.amdhsa_ieee_mode 1
		.amdhsa_fp16_overflow 0
		.amdhsa_workgroup_processor_mode 1
		.amdhsa_memory_ordered 1
		.amdhsa_forward_progress 1
		.amdhsa_shared_vgpr_count 0
		.amdhsa_exception_fp_ieee_invalid_op 0
		.amdhsa_exception_fp_denorm_src 0
		.amdhsa_exception_fp_ieee_div_zero 0
		.amdhsa_exception_fp_ieee_overflow 0
		.amdhsa_exception_fp_ieee_underflow 0
		.amdhsa_exception_fp_ieee_inexact 0
		.amdhsa_exception_int_div_zero 0
	.end_amdhsa_kernel
	.section	.text._ZN2at6native12_GLOBAL__N_144conv_depthwise3d_cuda_backward_weight_kernelIN3c104HalfEfLi1ELi1EEEvN5torch10headeronly6detail27GenericPackedTensorAccessorINS7_14TensorAccessorINS3_8ArrayRefIlEEKT_Lm4ENS6_16DefaultPtrTraitsEiEENS_6detail16IndexBoundsCheckILm5EiEESD_Lm5ESE_iEESJ_NS8_INS9_ISB_SC_Lm4ESE_iEESI_SC_Lm5ESE_iEEiiiiiiiii,"axG",@progbits,_ZN2at6native12_GLOBAL__N_144conv_depthwise3d_cuda_backward_weight_kernelIN3c104HalfEfLi1ELi1EEEvN5torch10headeronly6detail27GenericPackedTensorAccessorINS7_14TensorAccessorINS3_8ArrayRefIlEEKT_Lm4ENS6_16DefaultPtrTraitsEiEENS_6detail16IndexBoundsCheckILm5EiEESD_Lm5ESE_iEESJ_NS8_INS9_ISB_SC_Lm4ESE_iEESI_SC_Lm5ESE_iEEiiiiiiiii,comdat
.Lfunc_end38:
	.size	_ZN2at6native12_GLOBAL__N_144conv_depthwise3d_cuda_backward_weight_kernelIN3c104HalfEfLi1ELi1EEEvN5torch10headeronly6detail27GenericPackedTensorAccessorINS7_14TensorAccessorINS3_8ArrayRefIlEEKT_Lm4ENS6_16DefaultPtrTraitsEiEENS_6detail16IndexBoundsCheckILm5EiEESD_Lm5ESE_iEESJ_NS8_INS9_ISB_SC_Lm4ESE_iEESI_SC_Lm5ESE_iEEiiiiiiiii, .Lfunc_end38-_ZN2at6native12_GLOBAL__N_144conv_depthwise3d_cuda_backward_weight_kernelIN3c104HalfEfLi1ELi1EEEvN5torch10headeronly6detail27GenericPackedTensorAccessorINS7_14TensorAccessorINS3_8ArrayRefIlEEKT_Lm4ENS6_16DefaultPtrTraitsEiEENS_6detail16IndexBoundsCheckILm5EiEESD_Lm5ESE_iEESJ_NS8_INS9_ISB_SC_Lm4ESE_iEESI_SC_Lm5ESE_iEEiiiiiiiii
                                        ; -- End function
	.set _ZN2at6native12_GLOBAL__N_144conv_depthwise3d_cuda_backward_weight_kernelIN3c104HalfEfLi1ELi1EEEvN5torch10headeronly6detail27GenericPackedTensorAccessorINS7_14TensorAccessorINS3_8ArrayRefIlEEKT_Lm4ENS6_16DefaultPtrTraitsEiEENS_6detail16IndexBoundsCheckILm5EiEESD_Lm5ESE_iEESJ_NS8_INS9_ISB_SC_Lm4ESE_iEESI_SC_Lm5ESE_iEEiiiiiiiii.num_vgpr, 19
	.set _ZN2at6native12_GLOBAL__N_144conv_depthwise3d_cuda_backward_weight_kernelIN3c104HalfEfLi1ELi1EEEvN5torch10headeronly6detail27GenericPackedTensorAccessorINS7_14TensorAccessorINS3_8ArrayRefIlEEKT_Lm4ENS6_16DefaultPtrTraitsEiEENS_6detail16IndexBoundsCheckILm5EiEESD_Lm5ESE_iEESJ_NS8_INS9_ISB_SC_Lm4ESE_iEESI_SC_Lm5ESE_iEEiiiiiiiii.num_agpr, 0
	.set _ZN2at6native12_GLOBAL__N_144conv_depthwise3d_cuda_backward_weight_kernelIN3c104HalfEfLi1ELi1EEEvN5torch10headeronly6detail27GenericPackedTensorAccessorINS7_14TensorAccessorINS3_8ArrayRefIlEEKT_Lm4ENS6_16DefaultPtrTraitsEiEENS_6detail16IndexBoundsCheckILm5EiEESD_Lm5ESE_iEESJ_NS8_INS9_ISB_SC_Lm4ESE_iEESI_SC_Lm5ESE_iEEiiiiiiiii.numbered_sgpr, 47
	.set _ZN2at6native12_GLOBAL__N_144conv_depthwise3d_cuda_backward_weight_kernelIN3c104HalfEfLi1ELi1EEEvN5torch10headeronly6detail27GenericPackedTensorAccessorINS7_14TensorAccessorINS3_8ArrayRefIlEEKT_Lm4ENS6_16DefaultPtrTraitsEiEENS_6detail16IndexBoundsCheckILm5EiEESD_Lm5ESE_iEESJ_NS8_INS9_ISB_SC_Lm4ESE_iEESI_SC_Lm5ESE_iEEiiiiiiiii.num_named_barrier, 0
	.set _ZN2at6native12_GLOBAL__N_144conv_depthwise3d_cuda_backward_weight_kernelIN3c104HalfEfLi1ELi1EEEvN5torch10headeronly6detail27GenericPackedTensorAccessorINS7_14TensorAccessorINS3_8ArrayRefIlEEKT_Lm4ENS6_16DefaultPtrTraitsEiEENS_6detail16IndexBoundsCheckILm5EiEESD_Lm5ESE_iEESJ_NS8_INS9_ISB_SC_Lm4ESE_iEESI_SC_Lm5ESE_iEEiiiiiiiii.private_seg_size, 0
	.set _ZN2at6native12_GLOBAL__N_144conv_depthwise3d_cuda_backward_weight_kernelIN3c104HalfEfLi1ELi1EEEvN5torch10headeronly6detail27GenericPackedTensorAccessorINS7_14TensorAccessorINS3_8ArrayRefIlEEKT_Lm4ENS6_16DefaultPtrTraitsEiEENS_6detail16IndexBoundsCheckILm5EiEESD_Lm5ESE_iEESJ_NS8_INS9_ISB_SC_Lm4ESE_iEESI_SC_Lm5ESE_iEEiiiiiiiii.uses_vcc, 1
	.set _ZN2at6native12_GLOBAL__N_144conv_depthwise3d_cuda_backward_weight_kernelIN3c104HalfEfLi1ELi1EEEvN5torch10headeronly6detail27GenericPackedTensorAccessorINS7_14TensorAccessorINS3_8ArrayRefIlEEKT_Lm4ENS6_16DefaultPtrTraitsEiEENS_6detail16IndexBoundsCheckILm5EiEESD_Lm5ESE_iEESJ_NS8_INS9_ISB_SC_Lm4ESE_iEESI_SC_Lm5ESE_iEEiiiiiiiii.uses_flat_scratch, 0
	.set _ZN2at6native12_GLOBAL__N_144conv_depthwise3d_cuda_backward_weight_kernelIN3c104HalfEfLi1ELi1EEEvN5torch10headeronly6detail27GenericPackedTensorAccessorINS7_14TensorAccessorINS3_8ArrayRefIlEEKT_Lm4ENS6_16DefaultPtrTraitsEiEENS_6detail16IndexBoundsCheckILm5EiEESD_Lm5ESE_iEESJ_NS8_INS9_ISB_SC_Lm4ESE_iEESI_SC_Lm5ESE_iEEiiiiiiiii.has_dyn_sized_stack, 0
	.set _ZN2at6native12_GLOBAL__N_144conv_depthwise3d_cuda_backward_weight_kernelIN3c104HalfEfLi1ELi1EEEvN5torch10headeronly6detail27GenericPackedTensorAccessorINS7_14TensorAccessorINS3_8ArrayRefIlEEKT_Lm4ENS6_16DefaultPtrTraitsEiEENS_6detail16IndexBoundsCheckILm5EiEESD_Lm5ESE_iEESJ_NS8_INS9_ISB_SC_Lm4ESE_iEESI_SC_Lm5ESE_iEEiiiiiiiii.has_recursion, 0
	.set _ZN2at6native12_GLOBAL__N_144conv_depthwise3d_cuda_backward_weight_kernelIN3c104HalfEfLi1ELi1EEEvN5torch10headeronly6detail27GenericPackedTensorAccessorINS7_14TensorAccessorINS3_8ArrayRefIlEEKT_Lm4ENS6_16DefaultPtrTraitsEiEENS_6detail16IndexBoundsCheckILm5EiEESD_Lm5ESE_iEESJ_NS8_INS9_ISB_SC_Lm4ESE_iEESI_SC_Lm5ESE_iEEiiiiiiiii.has_indirect_call, 0
	.section	.AMDGPU.csdata,"",@progbits
; Kernel info:
; codeLenInByte = 1964
; TotalNumSgprs: 49
; NumVgprs: 19
; ScratchSize: 0
; MemoryBound: 0
; FloatMode: 240
; IeeeMode: 1
; LDSByteSize: 0 bytes/workgroup (compile time only)
; SGPRBlocks: 0
; VGPRBlocks: 2
; NumSGPRsForWavesPerEU: 49
; NumVGPRsForWavesPerEU: 19
; Occupancy: 16
; WaveLimiterHint : 1
; COMPUTE_PGM_RSRC2:SCRATCH_EN: 0
; COMPUTE_PGM_RSRC2:USER_SGPR: 6
; COMPUTE_PGM_RSRC2:TRAP_HANDLER: 0
; COMPUTE_PGM_RSRC2:TGID_X_EN: 1
; COMPUTE_PGM_RSRC2:TGID_Y_EN: 0
; COMPUTE_PGM_RSRC2:TGID_Z_EN: 0
; COMPUTE_PGM_RSRC2:TIDIG_COMP_CNT: 0
	.section	.text._ZN2at6native12_GLOBAL__N_144conv_depthwise3d_cuda_backward_weight_kernelIN3c104HalfEfLi2ELi2EEEvN5torch10headeronly6detail27GenericPackedTensorAccessorINS7_14TensorAccessorINS3_8ArrayRefIlEEKT_Lm4ENS6_16DefaultPtrTraitsEiEENS_6detail16IndexBoundsCheckILm5EiEESD_Lm5ESE_iEESJ_NS8_INS9_ISB_SC_Lm4ESE_iEESI_SC_Lm5ESE_iEEiiiiiiiii,"axG",@progbits,_ZN2at6native12_GLOBAL__N_144conv_depthwise3d_cuda_backward_weight_kernelIN3c104HalfEfLi2ELi2EEEvN5torch10headeronly6detail27GenericPackedTensorAccessorINS7_14TensorAccessorINS3_8ArrayRefIlEEKT_Lm4ENS6_16DefaultPtrTraitsEiEENS_6detail16IndexBoundsCheckILm5EiEESD_Lm5ESE_iEESJ_NS8_INS9_ISB_SC_Lm4ESE_iEESI_SC_Lm5ESE_iEEiiiiiiiii,comdat
	.globl	_ZN2at6native12_GLOBAL__N_144conv_depthwise3d_cuda_backward_weight_kernelIN3c104HalfEfLi2ELi2EEEvN5torch10headeronly6detail27GenericPackedTensorAccessorINS7_14TensorAccessorINS3_8ArrayRefIlEEKT_Lm4ENS6_16DefaultPtrTraitsEiEENS_6detail16IndexBoundsCheckILm5EiEESD_Lm5ESE_iEESJ_NS8_INS9_ISB_SC_Lm4ESE_iEESI_SC_Lm5ESE_iEEiiiiiiiii ; -- Begin function _ZN2at6native12_GLOBAL__N_144conv_depthwise3d_cuda_backward_weight_kernelIN3c104HalfEfLi2ELi2EEEvN5torch10headeronly6detail27GenericPackedTensorAccessorINS7_14TensorAccessorINS3_8ArrayRefIlEEKT_Lm4ENS6_16DefaultPtrTraitsEiEENS_6detail16IndexBoundsCheckILm5EiEESD_Lm5ESE_iEESJ_NS8_INS9_ISB_SC_Lm4ESE_iEESI_SC_Lm5ESE_iEEiiiiiiiii
	.p2align	8
	.type	_ZN2at6native12_GLOBAL__N_144conv_depthwise3d_cuda_backward_weight_kernelIN3c104HalfEfLi2ELi2EEEvN5torch10headeronly6detail27GenericPackedTensorAccessorINS7_14TensorAccessorINS3_8ArrayRefIlEEKT_Lm4ENS6_16DefaultPtrTraitsEiEENS_6detail16IndexBoundsCheckILm5EiEESD_Lm5ESE_iEESJ_NS8_INS9_ISB_SC_Lm4ESE_iEESI_SC_Lm5ESE_iEEiiiiiiiii,@function
_ZN2at6native12_GLOBAL__N_144conv_depthwise3d_cuda_backward_weight_kernelIN3c104HalfEfLi2ELi2EEEvN5torch10headeronly6detail27GenericPackedTensorAccessorINS7_14TensorAccessorINS3_8ArrayRefIlEEKT_Lm4ENS6_16DefaultPtrTraitsEiEENS_6detail16IndexBoundsCheckILm5EiEESD_Lm5ESE_iEESJ_NS8_INS9_ISB_SC_Lm4ESE_iEESI_SC_Lm5ESE_iEEiiiiiiiii: ; @_ZN2at6native12_GLOBAL__N_144conv_depthwise3d_cuda_backward_weight_kernelIN3c104HalfEfLi2ELi2EEEvN5torch10headeronly6detail27GenericPackedTensorAccessorINS7_14TensorAccessorINS3_8ArrayRefIlEEKT_Lm4ENS6_16DefaultPtrTraitsEiEENS_6detail16IndexBoundsCheckILm5EiEESD_Lm5ESE_iEESJ_NS8_INS9_ISB_SC_Lm4ESE_iEESI_SC_Lm5ESE_iEEiiiiiiiii
; %bb.0:
	s_load_dwordx4 s[0:3], s[4:5], 0x70
	s_add_u32 s8, s4, 0x60
	s_addc_u32 s9, s5, 0
	s_waitcnt lgkmcnt(0)
	v_cvt_f32_u32_e32 v1, s2
	v_cvt_f32_u32_e32 v2, s1
	s_sub_i32 s10, 0, s2
	v_rcp_iflag_f32_e32 v1, v1
	v_rcp_iflag_f32_e32 v2, v2
	v_mul_f32_e32 v1, 0x4f7ffffe, v1
	v_mul_f32_e32 v2, 0x4f7ffffe, v2
	v_cvt_u32_f32_e32 v1, v1
	v_cvt_u32_f32_e32 v2, v2
	v_readfirstlane_b32 s7, v1
	v_cvt_f32_u32_e32 v1, s0
	v_readfirstlane_b32 s13, v2
	s_mul_i32 s10, s10, s7
	v_rcp_iflag_f32_e32 v1, v1
	s_mul_hi_u32 s10, s7, s10
	s_add_i32 s7, s7, s10
	s_mul_hi_u32 s7, s6, s7
	s_mul_i32 s10, s7, s2
	s_add_i32 s11, s7, 1
	s_sub_i32 s10, s6, s10
	v_mul_f32_e32 v1, 0x4f7ffffe, v1
	s_sub_i32 s12, s10, s2
	s_cmp_ge_u32 s10, s2
	s_cselect_b32 s7, s11, s7
	s_cselect_b32 s10, s12, s10
	s_add_i32 s11, s7, 1
	s_cmp_ge_u32 s10, s2
	v_cvt_u32_f32_e32 v1, v1
	s_cselect_b32 s20, s11, s7
	s_sub_i32 s7, 0, s1
	s_mul_i32 s7, s7, s13
	v_readfirstlane_b32 s16, v1
	s_mul_hi_u32 s7, s13, s7
	s_add_i32 s13, s13, s7
	s_mul_hi_u32 s7, s20, s13
	s_mul_i32 s10, s7, s1
	s_add_i32 s11, s7, 1
	s_sub_i32 s10, s20, s10
	s_sub_i32 s12, s10, s1
	s_cmp_ge_u32 s10, s1
	s_cselect_b32 s7, s11, s7
	s_cselect_b32 s10, s12, s10
	s_add_i32 s11, s7, 1
	s_cmp_ge_u32 s10, s1
	s_load_dwordx4 s[12:15], s[4:5], 0x3c
	s_cselect_b32 s21, s11, s7
	s_sub_i32 s7, 0, s0
	s_mul_i32 s7, s7, s16
	s_mul_hi_u32 s7, s16, s7
	s_add_i32 s16, s16, s7
	s_mul_hi_u32 s7, s21, s16
	s_mul_i32 s10, s7, s0
	s_add_i32 s11, s7, 1
	s_sub_i32 s10, s21, s10
	s_sub_i32 s16, s10, s0
	s_cmp_ge_u32 s10, s0
	s_cselect_b32 s7, s11, s7
	s_cselect_b32 s10, s16, s10
	s_add_i32 s11, s7, 1
	s_cmp_ge_u32 s10, s0
	s_load_dwordx4 s[16:19], s[4:5], 0xc
	s_cselect_b32 s7, s11, s7
	s_waitcnt lgkmcnt(0)
	s_abs_i32 s10, s12
	v_cvt_f32_u32_e32 v1, s10
	s_sub_i32 s22, 0, s10
	v_rcp_iflag_f32_e32 v1, v1
	v_mul_f32_e32 v1, 0x4f7ffffe, v1
	s_abs_i32 s23, s16
	s_xor_b32 s12, s16, s12
	s_ashr_i32 s12, s12, 31
	v_cvt_u32_f32_e32 v1, v1
	v_readfirstlane_b32 s11, v1
	s_mul_i32 s22, s22, s11
	s_mul_hi_u32 s22, s11, s22
	s_add_i32 s11, s11, s22
	s_mul_hi_u32 s11, s23, s11
	s_mul_i32 s16, s11, s10
	s_add_i32 s22, s11, 1
	s_sub_i32 s16, s23, s16
	s_sub_i32 s23, s16, s10
	s_cmp_ge_u32 s16, s10
	s_cselect_b32 s11, s22, s11
	s_cselect_b32 s16, s23, s16
	s_add_i32 s22, s11, 1
	s_cmp_ge_u32 s16, s10
	s_cselect_b32 s10, s22, s11
	s_xor_b32 s10, s10, s12
	s_sub_i32 s22, s10, s12
	s_load_dword s10, s[4:5], 0x68
	s_abs_i32 s39, s22
	v_cvt_f32_u32_e32 v1, s39
	v_rcp_iflag_f32_e32 v1, v1
	v_mul_f32_e32 v1, 0x4f7ffffe, v1
	s_waitcnt lgkmcnt(0)
	s_cmp_ge_i32 s7, s10
	v_cvt_u32_f32_e32 v1, v1
	v_readfirstlane_b32 s23, v1
	s_cbranch_scc1 .LBB39_28
; %bb.1:
	s_clause 0x1
	s_load_dword s36, s[4:5], 0x38
	s_load_dword s24, s[4:5], 0xc4
	s_clause 0x1
	s_load_dwordx2 s[34:35], s[8:9], 0x0
	s_load_dwordx4 s[8:11], s[8:9], 0x24
	v_lshrrev_b32_e32 v4, 5, v0
	v_mov_b32_e32 v2, 0
	s_mul_i32 s2, s20, s2
	s_mul_i32 s1, s21, s1
	;; [unrolled: 1-line block ×3, first 2 shown]
	s_sub_i32 s6, s6, s2
	s_sub_i32 s12, s20, s1
	;; [unrolled: 1-line block ×3, first 2 shown]
	s_mov_b32 s37, exec_lo
	s_waitcnt lgkmcnt(0)
	s_mul_i32 s36, s36, s17
	s_and_b32 s33, s24, 0xffff
	v_cmpx_gt_i32_e64 s36, v4
	s_cbranch_execz .LBB39_23
; %bb.2:
	s_sub_i32 s0, 0, s39
	s_abs_i32 s25, s7
	s_mul_i32 s0, s0, s23
	s_ashr_i32 s24, s22, 31
	s_mul_hi_u32 s0, s23, s0
	s_ashr_i32 s2, s7, 31
	s_add_i32 s23, s23, s0
	s_xor_b32 s2, s2, s24
	s_mul_hi_u32 s40, s25, s23
	s_clause 0x2
	s_load_dwordx4 s[28:31], s[4:5], 0x9c
	s_load_dwordx2 s[0:1], s[4:5], 0x0
	s_load_dwordx4 s[20:23], s[4:5], 0x1c
	s_waitcnt lgkmcnt(0)
	s_mul_i32 s23, s40, s39
	s_lshr_b32 s38, s33, 5
	s_sub_i32 s23, s25, s23
	s_load_dwordx4 s[24:27], s[4:5], 0x4c
	s_add_i32 s41, s40, 1
	s_sub_i32 s42, s23, s39
	s_cmp_ge_u32 s23, s39
	v_mov_b32_e32 v10, 0
	s_waitcnt lgkmcnt(0)
	s_cselect_b32 s27, s41, s40
	s_load_dwordx2 s[40:41], s[4:5], 0x30
	s_cselect_b32 s23, s42, s23
	s_add_i32 s42, s27, 1
	s_cmp_ge_u32 s23, s39
	s_cselect_b32 s23, s42, s27
	s_load_dwordx2 s[42:43], s[4:5], 0xac
	s_xor_b32 s23, s23, s2
	s_abs_i32 s39, s17
	s_sub_i32 s2, s23, s2
	s_mul_i32 s4, s21, s7
	s_mul_i32 s21, s16, s31
	s_ashr_i32 s5, s4, 31
	s_ashr_i32 s27, s17, 31
	s_lshl_b64 s[44:45], s[4:5], 1
	s_sub_i32 s46, 0, s39
	s_sub_i32 s4, s21, s28
	v_cvt_f32_u32_e32 v1, s39
	s_add_u32 s5, s0, s44
	s_mul_i32 s0, s25, s2
	s_addc_u32 s21, s1, s45
	s_ashr_i32 s1, s0, 31
	v_rcp_iflag_f32_e32 v1, v1
	s_lshl_b64 s[0:1], s[0:1], 1
	s_waitcnt lgkmcnt(0)
	s_add_u32 s23, s40, s0
	s_addc_u32 s25, s41, s1
	s_abs_i32 s1, s19
	v_cvt_f32_u32_e32 v2, s1
	s_sub_i32 s0, 0, s1
	v_mul_f32_e32 v1, 0x4f7ffffe, v1
	v_rcp_iflag_f32_e32 v2, v2
	v_cvt_u32_f32_e32 v1, v1
	v_mul_lo_u32 v3, s46, v1
	v_mul_f32_e32 v2, 0x4f7ffffe, v2
	v_cvt_u32_f32_e32 v2, v2
	v_mul_hi_u32 v3, v1, v3
	v_mul_lo_u32 v5, s0, v2
	v_add_nc_u32_e32 v1, v1, v3
	v_and_b32_e32 v3, 31, v0
	v_mul_hi_u32 v5, v2, v5
	v_mul_hi_u32 v1, v4, v1
	v_add_nc_u32_e32 v2, v2, v5
	v_mul_lo_u32 v5, v1, s39
	v_add_nc_u32_e32 v7, 1, v1
	v_mul_hi_u32 v2, v3, v2
	v_sub_nc_u32_e32 v5, v4, v5
	v_mul_lo_u32 v6, v2, s1
	v_cmp_le_u32_e32 vcc_lo, s39, v5
	v_add_nc_u32_e32 v8, 1, v2
	v_cndmask_b32_e32 v1, v1, v7, vcc_lo
	v_subrev_nc_u32_e32 v7, s39, v5
	v_sub_nc_u32_e32 v6, v3, v6
	v_cndmask_b32_e32 v5, v5, v7, vcc_lo
	v_subrev_nc_u32_e32 v9, s1, v6
	v_cmp_le_u32_e64 s0, s1, v6
	v_add_nc_u32_e32 v7, 1, v1
	v_cmp_le_u32_e32 vcc_lo, s39, v5
	v_cndmask_b32_e64 v2, v2, v8, s0
	v_cndmask_b32_e64 v6, v6, v9, s0
	s_ashr_i32 s0, s19, 31
	v_cndmask_b32_e32 v1, v1, v7, vcc_lo
	v_mov_b32_e32 v7, 0
	v_add_nc_u32_e32 v8, 1, v2
	v_cmp_le_u32_e32 vcc_lo, s1, v6
	s_mul_i32 s1, s12, s42
	v_xor_b32_e32 v1, s27, v1
	s_sub_i32 s29, s1, s29
	v_cndmask_b32_e32 v2, v2, v8, vcc_lo
	v_lshlrev_b32_e32 v8, 1, v3
	v_subrev_nc_u32_e32 v5, s27, v1
	s_mov_b32 s27, 0
	v_xor_b32_e32 v2, s0, v2
	v_mul_lo_u32 v1, v5, s17
	v_subrev_nc_u32_e32 v6, s0, v2
	s_mul_i32 s0, s6, s43
	s_sub_i32 s28, s0, s30
	v_mul_lo_u32 v2, v6, s19
	v_sub_nc_u32_e32 v9, v4, v1
	v_cmp_gt_i32_e32 vcc_lo, s18, v6
	v_sub_nc_u32_e32 v11, v3, v2
	s_branch .LBB39_6
.LBB39_3:                               ;   in Loop: Header=BB39_6 Depth=1
	s_or_b32 exec_lo, exec_lo, s39
.LBB39_4:                               ;   in Loop: Header=BB39_6 Depth=1
	s_or_b32 exec_lo, exec_lo, s31
.LBB39_5:                               ;   in Loop: Header=BB39_6 Depth=1
	s_or_b32 exec_lo, exec_lo, s30
	v_add_nc_u32_e32 v4, s38, v4
	v_add_nc_u32_e32 v9, s38, v9
	v_cmp_le_i32_e64 s0, s36, v4
	s_or_b32 s27, s0, s27
	s_andn2_b32 exec_lo, exec_lo, s27
	s_cbranch_execz .LBB39_22
.LBB39_6:                               ; =>This Loop Header: Depth=1
                                        ;     Child Loop BB39_8 Depth 2
                                        ;     Child Loop BB39_14 Depth 2
                                        ;       Child Loop BB39_20 Depth 3
	s_mov_b32 s1, exec_lo
	v_cmpx_le_i32_e64 s17, v9
	s_cbranch_execz .LBB39_10
; %bb.7:                                ;   in Loop: Header=BB39_6 Depth=1
	s_mov_b32 s2, 0
.LBB39_8:                               ;   Parent Loop BB39_6 Depth=1
                                        ; =>  This Inner Loop Header: Depth=2
	v_subrev_nc_u32_e32 v9, s17, v9
	v_add_nc_u32_e32 v5, 1, v5
	v_cmp_gt_i32_e64 s0, s17, v9
	s_or_b32 s2, s0, s2
	s_andn2_b32 exec_lo, exec_lo, s2
	s_cbranch_execnz .LBB39_8
; %bb.9:                                ;   in Loop: Header=BB39_6 Depth=1
	s_or_b32 exec_lo, exec_lo, s2
.LBB39_10:                              ;   in Loop: Header=BB39_6 Depth=1
	s_or_b32 exec_lo, exec_lo, s1
	v_mad_u64_u32 v[1:2], null, v9, s11, s[4:5]
	v_cmp_lt_i32_e64 s0, -1, v1
	v_cmp_gt_i32_e64 s1, s13, v1
	s_and_b32 s0, s0, s1
	s_and_saveexec_b32 s30, s0
	s_cbranch_execz .LBB39_5
; %bb.11:                               ;   in Loop: Header=BB39_6 Depth=1
	s_and_saveexec_b32 s31, vcc_lo
	s_cbranch_execz .LBB39_4
; %bb.12:                               ;   in Loop: Header=BB39_6 Depth=1
	v_mul_lo_u32 v2, s20, v5
	v_mul_lo_u32 v12, s24, v5
	v_mul_lo_u32 v16, s22, v9
	v_mul_lo_u32 v14, s26, v1
	s_mov_b32 s39, 0
	v_ashrrev_i32_e32 v3, 31, v2
	v_ashrrev_i32_e32 v13, 31, v12
	v_ashrrev_i32_e32 v17, 31, v16
	v_ashrrev_i32_e32 v15, 31, v14
	v_lshlrev_b64 v[1:2], 1, v[2:3]
	v_lshlrev_b64 v[12:13], 1, v[12:13]
	;; [unrolled: 1-line block ×4, first 2 shown]
	v_add_co_u32 v1, s0, s5, v1
	v_add_co_ci_u32_e64 v2, null, s21, v2, s0
	v_add_co_u32 v3, s0, s23, v12
	v_add_co_ci_u32_e64 v13, null, s25, v13, s0
	;; [unrolled: 2-line block ×5, first 2 shown]
	v_mov_b32_e32 v14, v11
	v_mov_b32_e32 v15, v6
	s_branch .LBB39_14
.LBB39_13:                              ;   in Loop: Header=BB39_14 Depth=2
	s_or_b32 exec_lo, exec_lo, s1
	v_cmp_le_i32_e64 s0, s18, v15
	v_add_co_u32 v1, s1, v1, 64
	v_add_co_ci_u32_e64 v2, null, 0, v2, s1
	s_waitcnt vmcnt(0)
	v_fma_mix_f32 v10, v17, v16, v10 op_sel_hi:[0,1,0]
	s_or_b32 s39, s0, s39
	s_andn2_b32 exec_lo, exec_lo, s39
	s_cbranch_execz .LBB39_3
.LBB39_14:                              ;   Parent Loop BB39_6 Depth=1
                                        ; =>  This Loop Header: Depth=2
                                        ;       Child Loop BB39_20 Depth 3
	global_load_ushort v16, v[1:2], off
	v_lshl_add_u32 v3, v14, 1, s28
	v_mov_b32_e32 v17, 0
	s_mov_b32 s40, exec_lo
	v_cmpx_lt_i32_e32 -1, v3
	s_cbranch_execz .LBB39_18
; %bb.15:                               ;   in Loop: Header=BB39_14 Depth=2
	v_lshl_add_u32 v18, v15, 1, s29
	v_cmp_gt_i32_e64 s0, s15, v3
	v_mov_b32_e32 v17, 0
	v_cmp_gt_i32_e64 s1, s14, v18
	v_cmp_lt_i32_e64 s2, -1, v18
	s_and_b32 s0, s0, s1
	s_and_b32 s0, s0, s2
	s_and_saveexec_b32 s1, s0
	s_cbranch_execz .LBB39_17
; %bb.16:                               ;   in Loop: Header=BB39_14 Depth=2
	v_mad_u64_u32 v[17:18], null, v18, s15, v[3:4]
	v_mov_b32_e32 v18, v7
	v_lshlrev_b64 v[17:18], 1, v[17:18]
	v_add_co_u32 v17, s0, v12, v17
	v_add_co_ci_u32_e64 v18, null, v13, v18, s0
	global_load_ushort v3, v[17:18], off
	s_waitcnt vmcnt(0)
	v_cvt_f32_f16_e32 v17, v3
.LBB39_17:                              ;   in Loop: Header=BB39_14 Depth=2
	s_or_b32 exec_lo, exec_lo, s1
.LBB39_18:                              ;   in Loop: Header=BB39_14 Depth=2
	s_or_b32 exec_lo, exec_lo, s40
	v_add_nc_u32_e32 v14, 32, v14
	s_mov_b32 s1, exec_lo
	v_cmpx_le_i32_e64 s19, v14
	s_cbranch_execz .LBB39_13
; %bb.19:                               ;   in Loop: Header=BB39_14 Depth=2
	s_mov_b32 s2, 0
.LBB39_20:                              ;   Parent Loop BB39_6 Depth=1
                                        ;     Parent Loop BB39_14 Depth=2
                                        ; =>    This Inner Loop Header: Depth=3
	v_subrev_nc_u32_e32 v14, s19, v14
	v_add_nc_u32_e32 v15, 1, v15
	v_cmp_gt_i32_e64 s0, s19, v14
	s_or_b32 s2, s0, s2
	s_andn2_b32 exec_lo, exec_lo, s2
	s_cbranch_execnz .LBB39_20
; %bb.21:                               ;   in Loop: Header=BB39_14 Depth=2
	s_or_b32 exec_lo, exec_lo, s2
	s_branch .LBB39_13
.LBB39_22:
	s_or_b32 exec_lo, exec_lo, s27
	v_cvt_f16_f32_e32 v2, v10
.LBB39_23:
	s_or_b32 exec_lo, exec_lo, s37
	v_lshl_add_u32 v1, v0, 1, 0
	s_bcnt1_i32_b32 s0, s33
	s_cmp_lg_u32 s0, 1
	s_mov_b32 s0, -1
	ds_write_b16 v1, v2
	s_waitcnt lgkmcnt(0)
	s_barrier
	buffer_gl0_inv
	s_cbranch_scc1 .LBB39_32
; %bb.24:
	s_andn2_b32 vcc_lo, exec_lo, s0
	s_cbranch_vccnz .LBB39_28
.LBB39_25:
	s_cmp_lt_u32 s33, 2
	s_cbranch_scc0 .LBB39_30
.LBB39_26:
	s_mov_b32 s0, exec_lo
	v_cmpx_eq_u32_e32 0, v0
	s_cbranch_execz .LBB39_28
; %bb.27:
	s_mul_i32 s0, s3, s7
	v_mov_b32_e32 v0, 0
	s_ashr_i32 s1, s0, 31
	s_mul_i32 s2, s8, s16
	s_lshl_b64 s[0:1], s[0:1], 1
	ds_read_u16 v1, v0
	s_add_u32 s4, s34, s0
	s_addc_u32 s5, s35, s1
	s_ashr_i32 s3, s2, 31
	s_lshl_b64 s[0:1], s[2:3], 1
	s_mul_i32 s2, s9, s12
	s_add_u32 s4, s4, s0
	s_addc_u32 s5, s5, s1
	s_ashr_i32 s3, s2, 31
	s_lshl_b64 s[0:1], s[2:3], 1
	s_add_u32 s2, s4, s0
	s_mul_i32 s0, s10, s6
	s_addc_u32 s3, s5, s1
	s_ashr_i32 s1, s0, 31
	s_lshl_b64 s[0:1], s[0:1], 1
	s_add_u32 s0, s2, s0
	s_addc_u32 s1, s3, s1
	s_waitcnt lgkmcnt(0)
	global_store_short v0, v1, s[0:1]
.LBB39_28:
	s_endpgm
	.p2align	6
.LBB39_29:                              ;   in Loop: Header=BB39_30 Depth=1
	s_or_b32 exec_lo, exec_lo, s1
	s_cmp_lt_u32 s33, 4
	s_mov_b32 s33, s0
	s_waitcnt lgkmcnt(0)
	s_barrier
	buffer_gl0_inv
	s_cbranch_scc1 .LBB39_26
.LBB39_30:                              ; =>This Inner Loop Header: Depth=1
	s_lshr_b32 s0, s33, 1
	s_mov_b32 s1, exec_lo
	v_cmpx_gt_u32_e64 s0, v0
	s_cbranch_execz .LBB39_29
; %bb.31:                               ;   in Loop: Header=BB39_30 Depth=1
	v_lshl_add_u32 v2, s0, 1, v1
	ds_read_u16 v2, v2
	ds_read_u16 v3, v1
	s_waitcnt lgkmcnt(0)
	v_add_f16_e32 v2, v2, v3
	ds_write_b16 v1, v2
	s_branch .LBB39_29
.LBB39_32:
	s_trap 2
	; divergent unreachable
	s_cbranch_execz .LBB39_25
	s_branch .LBB39_28
	.section	.rodata,"a",@progbits
	.p2align	6, 0x0
	.amdhsa_kernel _ZN2at6native12_GLOBAL__N_144conv_depthwise3d_cuda_backward_weight_kernelIN3c104HalfEfLi2ELi2EEEvN5torch10headeronly6detail27GenericPackedTensorAccessorINS7_14TensorAccessorINS3_8ArrayRefIlEEKT_Lm4ENS6_16DefaultPtrTraitsEiEENS_6detail16IndexBoundsCheckILm5EiEESD_Lm5ESE_iEESJ_NS8_INS9_ISB_SC_Lm4ESE_iEESI_SC_Lm5ESE_iEEiiiiiiiii
		.amdhsa_group_segment_fixed_size 0
		.amdhsa_private_segment_fixed_size 0
		.amdhsa_kernarg_size 440
		.amdhsa_user_sgpr_count 6
		.amdhsa_user_sgpr_private_segment_buffer 1
		.amdhsa_user_sgpr_dispatch_ptr 0
		.amdhsa_user_sgpr_queue_ptr 0
		.amdhsa_user_sgpr_kernarg_segment_ptr 1
		.amdhsa_user_sgpr_dispatch_id 0
		.amdhsa_user_sgpr_flat_scratch_init 0
		.amdhsa_user_sgpr_private_segment_size 0
		.amdhsa_wavefront_size32 1
		.amdhsa_uses_dynamic_stack 0
		.amdhsa_system_sgpr_private_segment_wavefront_offset 0
		.amdhsa_system_sgpr_workgroup_id_x 1
		.amdhsa_system_sgpr_workgroup_id_y 0
		.amdhsa_system_sgpr_workgroup_id_z 0
		.amdhsa_system_sgpr_workgroup_info 0
		.amdhsa_system_vgpr_workitem_id 0
		.amdhsa_next_free_vgpr 19
		.amdhsa_next_free_sgpr 47
		.amdhsa_reserve_vcc 1
		.amdhsa_reserve_flat_scratch 0
		.amdhsa_float_round_mode_32 0
		.amdhsa_float_round_mode_16_64 0
		.amdhsa_float_denorm_mode_32 3
		.amdhsa_float_denorm_mode_16_64 3
		.amdhsa_dx10_clamp 1
		.amdhsa_ieee_mode 1
		.amdhsa_fp16_overflow 0
		.amdhsa_workgroup_processor_mode 1
		.amdhsa_memory_ordered 1
		.amdhsa_forward_progress 1
		.amdhsa_shared_vgpr_count 0
		.amdhsa_exception_fp_ieee_invalid_op 0
		.amdhsa_exception_fp_denorm_src 0
		.amdhsa_exception_fp_ieee_div_zero 0
		.amdhsa_exception_fp_ieee_overflow 0
		.amdhsa_exception_fp_ieee_underflow 0
		.amdhsa_exception_fp_ieee_inexact 0
		.amdhsa_exception_int_div_zero 0
	.end_amdhsa_kernel
	.section	.text._ZN2at6native12_GLOBAL__N_144conv_depthwise3d_cuda_backward_weight_kernelIN3c104HalfEfLi2ELi2EEEvN5torch10headeronly6detail27GenericPackedTensorAccessorINS7_14TensorAccessorINS3_8ArrayRefIlEEKT_Lm4ENS6_16DefaultPtrTraitsEiEENS_6detail16IndexBoundsCheckILm5EiEESD_Lm5ESE_iEESJ_NS8_INS9_ISB_SC_Lm4ESE_iEESI_SC_Lm5ESE_iEEiiiiiiiii,"axG",@progbits,_ZN2at6native12_GLOBAL__N_144conv_depthwise3d_cuda_backward_weight_kernelIN3c104HalfEfLi2ELi2EEEvN5torch10headeronly6detail27GenericPackedTensorAccessorINS7_14TensorAccessorINS3_8ArrayRefIlEEKT_Lm4ENS6_16DefaultPtrTraitsEiEENS_6detail16IndexBoundsCheckILm5EiEESD_Lm5ESE_iEESJ_NS8_INS9_ISB_SC_Lm4ESE_iEESI_SC_Lm5ESE_iEEiiiiiiiii,comdat
.Lfunc_end39:
	.size	_ZN2at6native12_GLOBAL__N_144conv_depthwise3d_cuda_backward_weight_kernelIN3c104HalfEfLi2ELi2EEEvN5torch10headeronly6detail27GenericPackedTensorAccessorINS7_14TensorAccessorINS3_8ArrayRefIlEEKT_Lm4ENS6_16DefaultPtrTraitsEiEENS_6detail16IndexBoundsCheckILm5EiEESD_Lm5ESE_iEESJ_NS8_INS9_ISB_SC_Lm4ESE_iEESI_SC_Lm5ESE_iEEiiiiiiiii, .Lfunc_end39-_ZN2at6native12_GLOBAL__N_144conv_depthwise3d_cuda_backward_weight_kernelIN3c104HalfEfLi2ELi2EEEvN5torch10headeronly6detail27GenericPackedTensorAccessorINS7_14TensorAccessorINS3_8ArrayRefIlEEKT_Lm4ENS6_16DefaultPtrTraitsEiEENS_6detail16IndexBoundsCheckILm5EiEESD_Lm5ESE_iEESJ_NS8_INS9_ISB_SC_Lm4ESE_iEESI_SC_Lm5ESE_iEEiiiiiiiii
                                        ; -- End function
	.set _ZN2at6native12_GLOBAL__N_144conv_depthwise3d_cuda_backward_weight_kernelIN3c104HalfEfLi2ELi2EEEvN5torch10headeronly6detail27GenericPackedTensorAccessorINS7_14TensorAccessorINS3_8ArrayRefIlEEKT_Lm4ENS6_16DefaultPtrTraitsEiEENS_6detail16IndexBoundsCheckILm5EiEESD_Lm5ESE_iEESJ_NS8_INS9_ISB_SC_Lm4ESE_iEESI_SC_Lm5ESE_iEEiiiiiiiii.num_vgpr, 19
	.set _ZN2at6native12_GLOBAL__N_144conv_depthwise3d_cuda_backward_weight_kernelIN3c104HalfEfLi2ELi2EEEvN5torch10headeronly6detail27GenericPackedTensorAccessorINS7_14TensorAccessorINS3_8ArrayRefIlEEKT_Lm4ENS6_16DefaultPtrTraitsEiEENS_6detail16IndexBoundsCheckILm5EiEESD_Lm5ESE_iEESJ_NS8_INS9_ISB_SC_Lm4ESE_iEESI_SC_Lm5ESE_iEEiiiiiiiii.num_agpr, 0
	.set _ZN2at6native12_GLOBAL__N_144conv_depthwise3d_cuda_backward_weight_kernelIN3c104HalfEfLi2ELi2EEEvN5torch10headeronly6detail27GenericPackedTensorAccessorINS7_14TensorAccessorINS3_8ArrayRefIlEEKT_Lm4ENS6_16DefaultPtrTraitsEiEENS_6detail16IndexBoundsCheckILm5EiEESD_Lm5ESE_iEESJ_NS8_INS9_ISB_SC_Lm4ESE_iEESI_SC_Lm5ESE_iEEiiiiiiiii.numbered_sgpr, 47
	.set _ZN2at6native12_GLOBAL__N_144conv_depthwise3d_cuda_backward_weight_kernelIN3c104HalfEfLi2ELi2EEEvN5torch10headeronly6detail27GenericPackedTensorAccessorINS7_14TensorAccessorINS3_8ArrayRefIlEEKT_Lm4ENS6_16DefaultPtrTraitsEiEENS_6detail16IndexBoundsCheckILm5EiEESD_Lm5ESE_iEESJ_NS8_INS9_ISB_SC_Lm4ESE_iEESI_SC_Lm5ESE_iEEiiiiiiiii.num_named_barrier, 0
	.set _ZN2at6native12_GLOBAL__N_144conv_depthwise3d_cuda_backward_weight_kernelIN3c104HalfEfLi2ELi2EEEvN5torch10headeronly6detail27GenericPackedTensorAccessorINS7_14TensorAccessorINS3_8ArrayRefIlEEKT_Lm4ENS6_16DefaultPtrTraitsEiEENS_6detail16IndexBoundsCheckILm5EiEESD_Lm5ESE_iEESJ_NS8_INS9_ISB_SC_Lm4ESE_iEESI_SC_Lm5ESE_iEEiiiiiiiii.private_seg_size, 0
	.set _ZN2at6native12_GLOBAL__N_144conv_depthwise3d_cuda_backward_weight_kernelIN3c104HalfEfLi2ELi2EEEvN5torch10headeronly6detail27GenericPackedTensorAccessorINS7_14TensorAccessorINS3_8ArrayRefIlEEKT_Lm4ENS6_16DefaultPtrTraitsEiEENS_6detail16IndexBoundsCheckILm5EiEESD_Lm5ESE_iEESJ_NS8_INS9_ISB_SC_Lm4ESE_iEESI_SC_Lm5ESE_iEEiiiiiiiii.uses_vcc, 1
	.set _ZN2at6native12_GLOBAL__N_144conv_depthwise3d_cuda_backward_weight_kernelIN3c104HalfEfLi2ELi2EEEvN5torch10headeronly6detail27GenericPackedTensorAccessorINS7_14TensorAccessorINS3_8ArrayRefIlEEKT_Lm4ENS6_16DefaultPtrTraitsEiEENS_6detail16IndexBoundsCheckILm5EiEESD_Lm5ESE_iEESJ_NS8_INS9_ISB_SC_Lm4ESE_iEESI_SC_Lm5ESE_iEEiiiiiiiii.uses_flat_scratch, 0
	.set _ZN2at6native12_GLOBAL__N_144conv_depthwise3d_cuda_backward_weight_kernelIN3c104HalfEfLi2ELi2EEEvN5torch10headeronly6detail27GenericPackedTensorAccessorINS7_14TensorAccessorINS3_8ArrayRefIlEEKT_Lm4ENS6_16DefaultPtrTraitsEiEENS_6detail16IndexBoundsCheckILm5EiEESD_Lm5ESE_iEESJ_NS8_INS9_ISB_SC_Lm4ESE_iEESI_SC_Lm5ESE_iEEiiiiiiiii.has_dyn_sized_stack, 0
	.set _ZN2at6native12_GLOBAL__N_144conv_depthwise3d_cuda_backward_weight_kernelIN3c104HalfEfLi2ELi2EEEvN5torch10headeronly6detail27GenericPackedTensorAccessorINS7_14TensorAccessorINS3_8ArrayRefIlEEKT_Lm4ENS6_16DefaultPtrTraitsEiEENS_6detail16IndexBoundsCheckILm5EiEESD_Lm5ESE_iEESJ_NS8_INS9_ISB_SC_Lm4ESE_iEESI_SC_Lm5ESE_iEEiiiiiiiii.has_recursion, 0
	.set _ZN2at6native12_GLOBAL__N_144conv_depthwise3d_cuda_backward_weight_kernelIN3c104HalfEfLi2ELi2EEEvN5torch10headeronly6detail27GenericPackedTensorAccessorINS7_14TensorAccessorINS3_8ArrayRefIlEEKT_Lm4ENS6_16DefaultPtrTraitsEiEENS_6detail16IndexBoundsCheckILm5EiEESD_Lm5ESE_iEESJ_NS8_INS9_ISB_SC_Lm4ESE_iEESI_SC_Lm5ESE_iEEiiiiiiiii.has_indirect_call, 0
	.section	.AMDGPU.csdata,"",@progbits
; Kernel info:
; codeLenInByte = 1964
; TotalNumSgprs: 49
; NumVgprs: 19
; ScratchSize: 0
; MemoryBound: 0
; FloatMode: 240
; IeeeMode: 1
; LDSByteSize: 0 bytes/workgroup (compile time only)
; SGPRBlocks: 0
; VGPRBlocks: 2
; NumSGPRsForWavesPerEU: 49
; NumVGPRsForWavesPerEU: 19
; Occupancy: 16
; WaveLimiterHint : 1
; COMPUTE_PGM_RSRC2:SCRATCH_EN: 0
; COMPUTE_PGM_RSRC2:USER_SGPR: 6
; COMPUTE_PGM_RSRC2:TRAP_HANDLER: 0
; COMPUTE_PGM_RSRC2:TGID_X_EN: 1
; COMPUTE_PGM_RSRC2:TGID_Y_EN: 0
; COMPUTE_PGM_RSRC2:TGID_Z_EN: 0
; COMPUTE_PGM_RSRC2:TIDIG_COMP_CNT: 0
	.section	.text._ZN2at6native12_GLOBAL__N_144conv_depthwise3d_cuda_backward_weight_kernelIN3c104HalfEfLin1ELin1EEEvN5torch10headeronly6detail27GenericPackedTensorAccessorINS7_14TensorAccessorINS3_8ArrayRefIlEEKT_Lm4ENS6_16DefaultPtrTraitsEiEENS_6detail16IndexBoundsCheckILm5EiEESD_Lm5ESE_iEESJ_NS8_INS9_ISB_SC_Lm4ESE_iEESI_SC_Lm5ESE_iEEiiiiiiiii,"axG",@progbits,_ZN2at6native12_GLOBAL__N_144conv_depthwise3d_cuda_backward_weight_kernelIN3c104HalfEfLin1ELin1EEEvN5torch10headeronly6detail27GenericPackedTensorAccessorINS7_14TensorAccessorINS3_8ArrayRefIlEEKT_Lm4ENS6_16DefaultPtrTraitsEiEENS_6detail16IndexBoundsCheckILm5EiEESD_Lm5ESE_iEESJ_NS8_INS9_ISB_SC_Lm4ESE_iEESI_SC_Lm5ESE_iEEiiiiiiiii,comdat
	.globl	_ZN2at6native12_GLOBAL__N_144conv_depthwise3d_cuda_backward_weight_kernelIN3c104HalfEfLin1ELin1EEEvN5torch10headeronly6detail27GenericPackedTensorAccessorINS7_14TensorAccessorINS3_8ArrayRefIlEEKT_Lm4ENS6_16DefaultPtrTraitsEiEENS_6detail16IndexBoundsCheckILm5EiEESD_Lm5ESE_iEESJ_NS8_INS9_ISB_SC_Lm4ESE_iEESI_SC_Lm5ESE_iEEiiiiiiiii ; -- Begin function _ZN2at6native12_GLOBAL__N_144conv_depthwise3d_cuda_backward_weight_kernelIN3c104HalfEfLin1ELin1EEEvN5torch10headeronly6detail27GenericPackedTensorAccessorINS7_14TensorAccessorINS3_8ArrayRefIlEEKT_Lm4ENS6_16DefaultPtrTraitsEiEENS_6detail16IndexBoundsCheckILm5EiEESD_Lm5ESE_iEESJ_NS8_INS9_ISB_SC_Lm4ESE_iEESI_SC_Lm5ESE_iEEiiiiiiiii
	.p2align	8
	.type	_ZN2at6native12_GLOBAL__N_144conv_depthwise3d_cuda_backward_weight_kernelIN3c104HalfEfLin1ELin1EEEvN5torch10headeronly6detail27GenericPackedTensorAccessorINS7_14TensorAccessorINS3_8ArrayRefIlEEKT_Lm4ENS6_16DefaultPtrTraitsEiEENS_6detail16IndexBoundsCheckILm5EiEESD_Lm5ESE_iEESJ_NS8_INS9_ISB_SC_Lm4ESE_iEESI_SC_Lm5ESE_iEEiiiiiiiii,@function
_ZN2at6native12_GLOBAL__N_144conv_depthwise3d_cuda_backward_weight_kernelIN3c104HalfEfLin1ELin1EEEvN5torch10headeronly6detail27GenericPackedTensorAccessorINS7_14TensorAccessorINS3_8ArrayRefIlEEKT_Lm4ENS6_16DefaultPtrTraitsEiEENS_6detail16IndexBoundsCheckILm5EiEESD_Lm5ESE_iEESJ_NS8_INS9_ISB_SC_Lm4ESE_iEESI_SC_Lm5ESE_iEEiiiiiiiii: ; @_ZN2at6native12_GLOBAL__N_144conv_depthwise3d_cuda_backward_weight_kernelIN3c104HalfEfLin1ELin1EEEvN5torch10headeronly6detail27GenericPackedTensorAccessorINS7_14TensorAccessorINS3_8ArrayRefIlEEKT_Lm4ENS6_16DefaultPtrTraitsEiEENS_6detail16IndexBoundsCheckILm5EiEESD_Lm5ESE_iEESJ_NS8_INS9_ISB_SC_Lm4ESE_iEESI_SC_Lm5ESE_iEEiiiiiiiii
; %bb.0:
	s_load_dwordx4 s[0:3], s[4:5], 0x70
	s_add_u32 s8, s4, 0x60
	s_addc_u32 s9, s5, 0
	s_clause 0x1
	s_load_dwordx4 s[16:19], s[4:5], 0x3c
	s_load_dwordx4 s[20:23], s[4:5], 0xc
	s_waitcnt lgkmcnt(0)
	v_cvt_f32_u32_e32 v1, s2
	v_cvt_f32_u32_e32 v2, s1
	s_sub_i32 s10, 0, s2
	v_rcp_iflag_f32_e32 v1, v1
	v_rcp_iflag_f32_e32 v2, v2
	v_mul_f32_e32 v1, 0x4f7ffffe, v1
	v_mul_f32_e32 v2, 0x4f7ffffe, v2
	v_cvt_u32_f32_e32 v1, v1
	v_cvt_u32_f32_e32 v2, v2
	v_readfirstlane_b32 s7, v1
	v_cvt_f32_u32_e32 v1, s0
	v_readfirstlane_b32 s13, v2
	s_mul_i32 s10, s10, s7
	v_rcp_iflag_f32_e32 v1, v1
	s_mul_hi_u32 s10, s7, s10
	s_add_i32 s7, s7, s10
	s_mul_hi_u32 s7, s6, s7
	s_mul_i32 s10, s7, s2
	s_add_i32 s11, s7, 1
	s_sub_i32 s10, s6, s10
	v_mul_f32_e32 v1, 0x4f7ffffe, v1
	s_sub_i32 s12, s10, s2
	s_cmp_ge_u32 s10, s2
	s_cselect_b32 s7, s11, s7
	s_cselect_b32 s10, s12, s10
	s_add_i32 s11, s7, 1
	s_cmp_ge_u32 s10, s2
	v_cvt_u32_f32_e32 v1, v1
	s_cselect_b32 s24, s11, s7
	s_sub_i32 s7, 0, s1
	s_mul_i32 s7, s7, s13
	s_mul_hi_u32 s7, s13, s7
	s_add_i32 s13, s13, s7
	s_mul_hi_u32 s7, s24, s13
	v_readfirstlane_b32 s13, v1
	s_mul_i32 s10, s7, s1
	s_add_i32 s11, s7, 1
	s_sub_i32 s10, s24, s10
	s_sub_i32 s12, s10, s1
	s_cmp_ge_u32 s10, s1
	s_cselect_b32 s7, s11, s7
	s_cselect_b32 s10, s12, s10
	s_add_i32 s11, s7, 1
	s_cmp_ge_u32 s10, s1
	s_cselect_b32 s25, s11, s7
	s_sub_i32 s7, 0, s0
	s_mul_i32 s7, s7, s13
	s_mul_hi_u32 s7, s13, s7
	s_add_i32 s13, s13, s7
	s_mul_hi_u32 s7, s25, s13
	s_mul_i32 s10, s7, s0
	s_add_i32 s11, s7, 1
	s_sub_i32 s10, s25, s10
	s_sub_i32 s12, s10, s0
	s_cmp_ge_u32 s10, s0
	s_cselect_b32 s7, s11, s7
	s_cselect_b32 s10, s12, s10
	s_add_i32 s11, s7, 1
	s_cmp_ge_u32 s10, s0
	s_cselect_b32 s7, s11, s7
	s_abs_i32 s10, s16
	s_abs_i32 s13, s20
	v_cvt_f32_u32_e32 v1, s10
	s_sub_i32 s12, 0, s10
	v_rcp_iflag_f32_e32 v1, v1
	v_mul_f32_e32 v1, 0x4f7ffffe, v1
	v_cvt_u32_f32_e32 v1, v1
	v_readfirstlane_b32 s11, v1
	s_mul_i32 s12, s12, s11
	s_mul_hi_u32 s12, s11, s12
	s_add_i32 s11, s11, s12
	s_xor_b32 s12, s20, s16
	s_mul_hi_u32 s11, s13, s11
	s_ashr_i32 s12, s12, 31
	s_mul_i32 s14, s11, s10
	s_sub_i32 s13, s13, s14
	s_add_i32 s14, s11, 1
	s_sub_i32 s15, s13, s10
	s_cmp_ge_u32 s13, s10
	s_cselect_b32 s11, s14, s11
	s_cselect_b32 s13, s15, s13
	s_add_i32 s14, s11, 1
	s_cmp_ge_u32 s13, s10
	s_cselect_b32 s10, s14, s11
	s_xor_b32 s10, s10, s12
	s_sub_i32 s26, s10, s12
	s_load_dword s10, s[4:5], 0x68
	s_abs_i32 s44, s26
	v_cvt_f32_u32_e32 v1, s44
	v_rcp_iflag_f32_e32 v1, v1
	v_mul_f32_e32 v1, 0x4f7ffffe, v1
	s_waitcnt lgkmcnt(0)
	s_cmp_ge_i32 s7, s10
	v_cvt_u32_f32_e32 v1, v1
	v_readfirstlane_b32 s27, v1
	s_cbranch_scc1 .LBB40_28
; %bb.1:
	s_clause 0x1
	s_load_dword s41, s[4:5], 0x38
	s_load_dwordx4 s[36:39], s[8:9], 0x44
	s_load_dword s28, s[4:5], 0xc4
	s_clause 0x1
	s_load_dwordx2 s[34:35], s[8:9], 0x0
	s_load_dwordx8 s[8:15], s[8:9], 0x24
	v_lshrrev_b32_e32 v6, 5, v0
	v_mov_b32_e32 v2, 0
	s_mul_i32 s2, s24, s2
	s_mul_i32 s1, s25, s1
	;; [unrolled: 1-line block ×3, first 2 shown]
	s_sub_i32 s16, s6, s2
	s_sub_i32 s20, s24, s1
	;; [unrolled: 1-line block ×3, first 2 shown]
	s_mov_b32 s42, exec_lo
	s_waitcnt lgkmcnt(0)
	s_mul_i32 s41, s41, s21
	s_and_b32 s40, s28, 0xffff
	v_cmpx_gt_i32_e64 s41, v6
	s_cbranch_execz .LBB40_23
; %bb.2:
	s_sub_i32 s0, 0, s44
	s_abs_i32 s28, s7
	s_mul_i32 s0, s0, s27
	s_ashr_i32 s6, s26, 31
	s_mul_hi_u32 s0, s27, s0
	s_ashr_i32 s2, s7, 31
	s_add_i32 s27, s27, s0
	s_xor_b32 s2, s2, s6
	s_mul_hi_u32 s45, s28, s27
	s_clause 0x1
	s_load_dwordx2 s[0:1], s[4:5], 0x0
	s_load_dwordx4 s[24:27], s[4:5], 0x1c
	s_waitcnt lgkmcnt(0)
	s_mul_i32 s27, s45, s44
	s_lshr_b32 s43, s40, 5
	s_sub_i32 s6, s28, s27
	s_add_i32 s27, s45, 1
	s_sub_i32 s46, s6, s44
	s_load_dwordx4 s[28:31], s[4:5], 0x4c
	s_cmp_ge_u32 s6, s44
	v_mov_b32_e32 v13, 0
	s_cselect_b32 s27, s27, s45
	s_cselect_b32 s6, s46, s6
	s_waitcnt lgkmcnt(0)
	s_add_i32 s31, s27, 1
	s_cmp_ge_u32 s6, s44
	s_load_dwordx2 s[44:45], s[4:5], 0x30
	s_cselect_b32 s4, s31, s27
	s_abs_i32 s31, s21
	s_xor_b32 s4, s4, s2
	s_ashr_i32 s6, s21, 31
	s_sub_i32 s2, s4, s2
	s_sub_i32 s48, 0, s31
	s_mul_i32 s4, s25, s7
	s_mul_i32 s25, s33, s37
	s_ashr_i32 s5, s4, 31
	v_cvt_f32_u32_e32 v1, s31
	s_lshl_b64 s[46:47], s[4:5], 1
	s_sub_i32 s4, s25, s14
	s_add_u32 s5, s0, s46
	s_mul_i32 s0, s29, s2
	s_addc_u32 s25, s1, s47
	s_ashr_i32 s1, s0, 31
	v_rcp_iflag_f32_e32 v1, v1
	s_lshl_b64 s[0:1], s[0:1], 1
	s_waitcnt lgkmcnt(0)
	s_add_u32 s27, s44, s0
	s_addc_u32 s29, s45, s1
	s_abs_i32 s1, s23
	v_cvt_f32_u32_e32 v2, s1
	s_sub_i32 s0, 0, s1
	v_mul_f32_e32 v1, 0x4f7ffffe, v1
	v_rcp_iflag_f32_e32 v2, v2
	v_cvt_u32_f32_e32 v1, v1
	v_mul_lo_u32 v3, s48, v1
	v_mul_f32_e32 v2, 0x4f7ffffe, v2
	v_cvt_u32_f32_e32 v2, v2
	v_mul_hi_u32 v3, v1, v3
	v_mul_lo_u32 v4, s0, v2
	v_add_nc_u32_e32 v1, v1, v3
	v_and_b32_e32 v3, 31, v0
	v_mul_hi_u32 v4, v2, v4
	v_mul_hi_u32 v1, v6, v1
	v_lshlrev_b32_e32 v10, 1, v3
	v_add_nc_u32_e32 v2, v2, v4
	v_mul_lo_u32 v4, v1, s31
	v_add_nc_u32_e32 v7, 1, v1
	v_mul_hi_u32 v2, v3, v2
	v_sub_nc_u32_e32 v4, v6, v4
	v_mul_lo_u32 v5, v2, s1
	v_cmp_le_u32_e32 vcc_lo, s31, v4
	v_add_nc_u32_e32 v8, 1, v2
	v_cndmask_b32_e32 v1, v1, v7, vcc_lo
	v_subrev_nc_u32_e32 v7, s31, v4
	v_sub_nc_u32_e32 v5, v3, v5
	v_cndmask_b32_e32 v4, v4, v7, vcc_lo
	v_subrev_nc_u32_e32 v9, s1, v5
	v_cmp_le_u32_e64 s0, s1, v5
	v_add_nc_u32_e32 v7, 1, v1
	v_cmp_le_u32_e32 vcc_lo, s31, v4
	s_mov_b32 s31, 0
	v_cndmask_b32_e64 v2, v2, v8, s0
	v_cndmask_b32_e64 v5, v5, v9, s0
	s_ashr_i32 s0, s23, 31
	v_cndmask_b32_e32 v1, v1, v7, vcc_lo
	v_mov_b32_e32 v9, 0
	v_add_nc_u32_e32 v8, 1, v2
	v_cmp_le_u32_e32 vcc_lo, s1, v5
	s_mul_i32 s1, s20, s38
	v_xor_b32_e32 v1, s6, v1
	s_sub_i32 s14, s1, s15
	v_cndmask_b32_e32 v2, v2, v8, vcc_lo
	v_subrev_nc_u32_e32 v7, s6, v1
	v_xor_b32_e32 v2, s0, v2
	v_mul_lo_u32 v1, v7, s21
	v_subrev_nc_u32_e32 v8, s0, v2
	s_mul_i32 s0, s16, s39
	s_sub_i32 s6, s0, s36
	v_mul_lo_u32 v2, v8, s23
	v_sub_nc_u32_e32 v11, v6, v1
	v_cmp_gt_i32_e32 vcc_lo, s22, v8
	v_sub_nc_u32_e32 v12, v3, v2
	s_branch .LBB40_6
.LBB40_3:                               ;   in Loop: Header=BB40_6 Depth=1
	s_or_b32 exec_lo, exec_lo, s37
.LBB40_4:                               ;   in Loop: Header=BB40_6 Depth=1
	s_or_b32 exec_lo, exec_lo, s36
.LBB40_5:                               ;   in Loop: Header=BB40_6 Depth=1
	s_or_b32 exec_lo, exec_lo, s15
	v_add_nc_u32_e32 v6, s43, v6
	v_add_nc_u32_e32 v11, s43, v11
	v_cmp_le_i32_e64 s0, s41, v6
	s_or_b32 s31, s0, s31
	s_andn2_b32 exec_lo, exec_lo, s31
	s_cbranch_execz .LBB40_22
.LBB40_6:                               ; =>This Loop Header: Depth=1
                                        ;     Child Loop BB40_8 Depth 2
                                        ;     Child Loop BB40_14 Depth 2
                                        ;       Child Loop BB40_20 Depth 3
	s_mov_b32 s1, exec_lo
	v_cmpx_le_i32_e64 s21, v11
	s_cbranch_execz .LBB40_10
; %bb.7:                                ;   in Loop: Header=BB40_6 Depth=1
	s_mov_b32 s2, 0
.LBB40_8:                               ;   Parent Loop BB40_6 Depth=1
                                        ; =>  This Inner Loop Header: Depth=2
	v_subrev_nc_u32_e32 v11, s21, v11
	v_add_nc_u32_e32 v7, 1, v7
	v_cmp_gt_i32_e64 s0, s21, v11
	s_or_b32 s2, s0, s2
	s_andn2_b32 exec_lo, exec_lo, s2
	s_cbranch_execnz .LBB40_8
; %bb.9:                                ;   in Loop: Header=BB40_6 Depth=1
	s_or_b32 exec_lo, exec_lo, s2
.LBB40_10:                              ;   in Loop: Header=BB40_6 Depth=1
	s_or_b32 exec_lo, exec_lo, s1
	v_mad_u64_u32 v[1:2], null, v11, s11, s[4:5]
	v_cmp_lt_i32_e64 s0, -1, v1
	v_cmp_gt_i32_e64 s1, s17, v1
	s_and_b32 s0, s0, s1
	s_and_saveexec_b32 s15, s0
	s_cbranch_execz .LBB40_5
; %bb.11:                               ;   in Loop: Header=BB40_6 Depth=1
	s_and_saveexec_b32 s36, vcc_lo
	s_cbranch_execz .LBB40_4
; %bb.12:                               ;   in Loop: Header=BB40_6 Depth=1
	v_mul_lo_u32 v2, s24, v7
	v_mul_lo_u32 v4, s28, v7
	;; [unrolled: 1-line block ×4, first 2 shown]
	s_mov_b32 s37, 0
	v_ashrrev_i32_e32 v3, 31, v2
	v_ashrrev_i32_e32 v5, 31, v4
	;; [unrolled: 1-line block ×4, first 2 shown]
	v_lshlrev_b64 v[1:2], 1, v[2:3]
	v_lshlrev_b64 v[3:4], 1, v[4:5]
	;; [unrolled: 1-line block ×4, first 2 shown]
	v_add_co_u32 v1, s0, s5, v1
	v_add_co_ci_u32_e64 v2, null, s25, v2, s0
	v_add_co_u32 v3, s0, s27, v3
	v_add_co_ci_u32_e64 v4, null, s29, v4, s0
	;; [unrolled: 2-line block ×5, first 2 shown]
	v_mov_b32_e32 v16, v12
	v_mov_b32_e32 v17, v8
	s_branch .LBB40_14
.LBB40_13:                              ;   in Loop: Header=BB40_14 Depth=2
	s_or_b32 exec_lo, exec_lo, s1
	v_cmp_le_i32_e64 s0, s22, v17
	v_add_co_u32 v1, s1, v1, 64
	v_add_co_ci_u32_e64 v2, null, 0, v2, s1
	s_waitcnt vmcnt(0)
	v_fma_mix_f32 v13, v5, v18, v13 op_sel_hi:[0,1,0]
	s_or_b32 s37, s0, s37
	s_andn2_b32 exec_lo, exec_lo, s37
	s_cbranch_execz .LBB40_3
.LBB40_14:                              ;   Parent Loop BB40_6 Depth=1
                                        ; =>  This Loop Header: Depth=2
                                        ;       Child Loop BB40_20 Depth 3
	global_load_ushort v18, v[1:2], off
	v_mad_u64_u32 v[3:4], null, v16, s13, s[6:7]
	v_mov_b32_e32 v5, 0
	s_mov_b32 s38, exec_lo
	v_cmpx_lt_i32_e32 -1, v3
	s_cbranch_execz .LBB40_18
; %bb.15:                               ;   in Loop: Header=BB40_14 Depth=2
	v_mad_u64_u32 v[4:5], null, v17, s12, s[14:15]
	v_cmp_gt_i32_e64 s0, s19, v3
	v_mov_b32_e32 v5, 0
	v_cmp_gt_i32_e64 s1, s18, v4
	v_cmp_lt_i32_e64 s2, -1, v4
	s_and_b32 s0, s0, s1
	s_and_b32 s0, s0, s2
	s_and_saveexec_b32 s1, s0
	s_cbranch_execz .LBB40_17
; %bb.16:                               ;   in Loop: Header=BB40_14 Depth=2
	v_mad_u64_u32 v[3:4], null, v4, s19, v[3:4]
	v_mov_b32_e32 v4, v9
	v_lshlrev_b64 v[3:4], 1, v[3:4]
	v_add_co_u32 v3, s0, v14, v3
	v_add_co_ci_u32_e64 v4, null, v15, v4, s0
	global_load_ushort v3, v[3:4], off
	s_waitcnt vmcnt(0)
	v_cvt_f32_f16_e32 v5, v3
.LBB40_17:                              ;   in Loop: Header=BB40_14 Depth=2
	s_or_b32 exec_lo, exec_lo, s1
.LBB40_18:                              ;   in Loop: Header=BB40_14 Depth=2
	s_or_b32 exec_lo, exec_lo, s38
	v_add_nc_u32_e32 v16, 32, v16
	s_mov_b32 s1, exec_lo
	v_cmpx_le_i32_e64 s23, v16
	s_cbranch_execz .LBB40_13
; %bb.19:                               ;   in Loop: Header=BB40_14 Depth=2
	s_mov_b32 s2, 0
.LBB40_20:                              ;   Parent Loop BB40_6 Depth=1
                                        ;     Parent Loop BB40_14 Depth=2
                                        ; =>    This Inner Loop Header: Depth=3
	v_subrev_nc_u32_e32 v16, s23, v16
	v_add_nc_u32_e32 v17, 1, v17
	v_cmp_gt_i32_e64 s0, s23, v16
	s_or_b32 s2, s0, s2
	s_andn2_b32 exec_lo, exec_lo, s2
	s_cbranch_execnz .LBB40_20
; %bb.21:                               ;   in Loop: Header=BB40_14 Depth=2
	s_or_b32 exec_lo, exec_lo, s2
	s_branch .LBB40_13
.LBB40_22:
	s_or_b32 exec_lo, exec_lo, s31
	v_cvt_f16_f32_e32 v2, v13
.LBB40_23:
	s_or_b32 exec_lo, exec_lo, s42
	v_lshl_add_u32 v1, v0, 1, 0
	s_bcnt1_i32_b32 s0, s40
	s_cmp_lg_u32 s0, 1
	s_mov_b32 s0, -1
	ds_write_b16 v1, v2
	s_waitcnt lgkmcnt(0)
	s_barrier
	buffer_gl0_inv
	s_cbranch_scc1 .LBB40_32
; %bb.24:
	s_andn2_b32 vcc_lo, exec_lo, s0
	s_cbranch_vccnz .LBB40_28
.LBB40_25:
	s_cmp_lt_u32 s40, 2
	s_cbranch_scc0 .LBB40_30
.LBB40_26:
	s_mov_b32 s0, exec_lo
	v_cmpx_eq_u32_e32 0, v0
	s_cbranch_execz .LBB40_28
; %bb.27:
	s_mul_i32 s0, s3, s7
	v_mov_b32_e32 v0, 0
	s_ashr_i32 s1, s0, 31
	s_mul_i32 s2, s8, s33
	s_lshl_b64 s[0:1], s[0:1], 1
	ds_read_u16 v1, v0
	s_add_u32 s4, s34, s0
	s_addc_u32 s5, s35, s1
	s_ashr_i32 s3, s2, 31
	s_lshl_b64 s[0:1], s[2:3], 1
	s_mul_i32 s2, s9, s20
	s_add_u32 s4, s4, s0
	s_addc_u32 s5, s5, s1
	s_ashr_i32 s3, s2, 31
	s_lshl_b64 s[0:1], s[2:3], 1
	s_add_u32 s2, s4, s0
	s_mul_i32 s0, s10, s16
	s_addc_u32 s3, s5, s1
	s_ashr_i32 s1, s0, 31
	s_lshl_b64 s[0:1], s[0:1], 1
	s_add_u32 s0, s2, s0
	s_addc_u32 s1, s3, s1
	s_waitcnt lgkmcnt(0)
	global_store_short v0, v1, s[0:1]
.LBB40_28:
	s_endpgm
	.p2align	6
.LBB40_29:                              ;   in Loop: Header=BB40_30 Depth=1
	s_or_b32 exec_lo, exec_lo, s1
	s_cmp_lt_u32 s40, 4
	s_mov_b32 s40, s0
	s_waitcnt lgkmcnt(0)
	s_barrier
	buffer_gl0_inv
	s_cbranch_scc1 .LBB40_26
.LBB40_30:                              ; =>This Inner Loop Header: Depth=1
	s_lshr_b32 s0, s40, 1
	s_mov_b32 s1, exec_lo
	v_cmpx_gt_u32_e64 s0, v0
	s_cbranch_execz .LBB40_29
; %bb.31:                               ;   in Loop: Header=BB40_30 Depth=1
	v_lshl_add_u32 v2, s0, 1, v1
	ds_read_u16 v2, v2
	ds_read_u16 v3, v1
	s_waitcnt lgkmcnt(0)
	v_add_f16_e32 v2, v2, v3
	ds_write_b16 v1, v2
	s_branch .LBB40_29
.LBB40_32:
	s_trap 2
	; divergent unreachable
	s_cbranch_execz .LBB40_25
	s_branch .LBB40_28
	.section	.rodata,"a",@progbits
	.p2align	6, 0x0
	.amdhsa_kernel _ZN2at6native12_GLOBAL__N_144conv_depthwise3d_cuda_backward_weight_kernelIN3c104HalfEfLin1ELin1EEEvN5torch10headeronly6detail27GenericPackedTensorAccessorINS7_14TensorAccessorINS3_8ArrayRefIlEEKT_Lm4ENS6_16DefaultPtrTraitsEiEENS_6detail16IndexBoundsCheckILm5EiEESD_Lm5ESE_iEESJ_NS8_INS9_ISB_SC_Lm4ESE_iEESI_SC_Lm5ESE_iEEiiiiiiiii
		.amdhsa_group_segment_fixed_size 0
		.amdhsa_private_segment_fixed_size 0
		.amdhsa_kernarg_size 440
		.amdhsa_user_sgpr_count 6
		.amdhsa_user_sgpr_private_segment_buffer 1
		.amdhsa_user_sgpr_dispatch_ptr 0
		.amdhsa_user_sgpr_queue_ptr 0
		.amdhsa_user_sgpr_kernarg_segment_ptr 1
		.amdhsa_user_sgpr_dispatch_id 0
		.amdhsa_user_sgpr_flat_scratch_init 0
		.amdhsa_user_sgpr_private_segment_size 0
		.amdhsa_wavefront_size32 1
		.amdhsa_uses_dynamic_stack 0
		.amdhsa_system_sgpr_private_segment_wavefront_offset 0
		.amdhsa_system_sgpr_workgroup_id_x 1
		.amdhsa_system_sgpr_workgroup_id_y 0
		.amdhsa_system_sgpr_workgroup_id_z 0
		.amdhsa_system_sgpr_workgroup_info 0
		.amdhsa_system_vgpr_workitem_id 0
		.amdhsa_next_free_vgpr 19
		.amdhsa_next_free_sgpr 49
		.amdhsa_reserve_vcc 1
		.amdhsa_reserve_flat_scratch 0
		.amdhsa_float_round_mode_32 0
		.amdhsa_float_round_mode_16_64 0
		.amdhsa_float_denorm_mode_32 3
		.amdhsa_float_denorm_mode_16_64 3
		.amdhsa_dx10_clamp 1
		.amdhsa_ieee_mode 1
		.amdhsa_fp16_overflow 0
		.amdhsa_workgroup_processor_mode 1
		.amdhsa_memory_ordered 1
		.amdhsa_forward_progress 1
		.amdhsa_shared_vgpr_count 0
		.amdhsa_exception_fp_ieee_invalid_op 0
		.amdhsa_exception_fp_denorm_src 0
		.amdhsa_exception_fp_ieee_div_zero 0
		.amdhsa_exception_fp_ieee_overflow 0
		.amdhsa_exception_fp_ieee_underflow 0
		.amdhsa_exception_fp_ieee_inexact 0
		.amdhsa_exception_int_div_zero 0
	.end_amdhsa_kernel
	.section	.text._ZN2at6native12_GLOBAL__N_144conv_depthwise3d_cuda_backward_weight_kernelIN3c104HalfEfLin1ELin1EEEvN5torch10headeronly6detail27GenericPackedTensorAccessorINS7_14TensorAccessorINS3_8ArrayRefIlEEKT_Lm4ENS6_16DefaultPtrTraitsEiEENS_6detail16IndexBoundsCheckILm5EiEESD_Lm5ESE_iEESJ_NS8_INS9_ISB_SC_Lm4ESE_iEESI_SC_Lm5ESE_iEEiiiiiiiii,"axG",@progbits,_ZN2at6native12_GLOBAL__N_144conv_depthwise3d_cuda_backward_weight_kernelIN3c104HalfEfLin1ELin1EEEvN5torch10headeronly6detail27GenericPackedTensorAccessorINS7_14TensorAccessorINS3_8ArrayRefIlEEKT_Lm4ENS6_16DefaultPtrTraitsEiEENS_6detail16IndexBoundsCheckILm5EiEESD_Lm5ESE_iEESJ_NS8_INS9_ISB_SC_Lm4ESE_iEESI_SC_Lm5ESE_iEEiiiiiiiii,comdat
.Lfunc_end40:
	.size	_ZN2at6native12_GLOBAL__N_144conv_depthwise3d_cuda_backward_weight_kernelIN3c104HalfEfLin1ELin1EEEvN5torch10headeronly6detail27GenericPackedTensorAccessorINS7_14TensorAccessorINS3_8ArrayRefIlEEKT_Lm4ENS6_16DefaultPtrTraitsEiEENS_6detail16IndexBoundsCheckILm5EiEESD_Lm5ESE_iEESJ_NS8_INS9_ISB_SC_Lm4ESE_iEESI_SC_Lm5ESE_iEEiiiiiiiii, .Lfunc_end40-_ZN2at6native12_GLOBAL__N_144conv_depthwise3d_cuda_backward_weight_kernelIN3c104HalfEfLin1ELin1EEEvN5torch10headeronly6detail27GenericPackedTensorAccessorINS7_14TensorAccessorINS3_8ArrayRefIlEEKT_Lm4ENS6_16DefaultPtrTraitsEiEENS_6detail16IndexBoundsCheckILm5EiEESD_Lm5ESE_iEESJ_NS8_INS9_ISB_SC_Lm4ESE_iEESI_SC_Lm5ESE_iEEiiiiiiiii
                                        ; -- End function
	.set _ZN2at6native12_GLOBAL__N_144conv_depthwise3d_cuda_backward_weight_kernelIN3c104HalfEfLin1ELin1EEEvN5torch10headeronly6detail27GenericPackedTensorAccessorINS7_14TensorAccessorINS3_8ArrayRefIlEEKT_Lm4ENS6_16DefaultPtrTraitsEiEENS_6detail16IndexBoundsCheckILm5EiEESD_Lm5ESE_iEESJ_NS8_INS9_ISB_SC_Lm4ESE_iEESI_SC_Lm5ESE_iEEiiiiiiiii.num_vgpr, 19
	.set _ZN2at6native12_GLOBAL__N_144conv_depthwise3d_cuda_backward_weight_kernelIN3c104HalfEfLin1ELin1EEEvN5torch10headeronly6detail27GenericPackedTensorAccessorINS7_14TensorAccessorINS3_8ArrayRefIlEEKT_Lm4ENS6_16DefaultPtrTraitsEiEENS_6detail16IndexBoundsCheckILm5EiEESD_Lm5ESE_iEESJ_NS8_INS9_ISB_SC_Lm4ESE_iEESI_SC_Lm5ESE_iEEiiiiiiiii.num_agpr, 0
	.set _ZN2at6native12_GLOBAL__N_144conv_depthwise3d_cuda_backward_weight_kernelIN3c104HalfEfLin1ELin1EEEvN5torch10headeronly6detail27GenericPackedTensorAccessorINS7_14TensorAccessorINS3_8ArrayRefIlEEKT_Lm4ENS6_16DefaultPtrTraitsEiEENS_6detail16IndexBoundsCheckILm5EiEESD_Lm5ESE_iEESJ_NS8_INS9_ISB_SC_Lm4ESE_iEESI_SC_Lm5ESE_iEEiiiiiiiii.numbered_sgpr, 49
	.set _ZN2at6native12_GLOBAL__N_144conv_depthwise3d_cuda_backward_weight_kernelIN3c104HalfEfLin1ELin1EEEvN5torch10headeronly6detail27GenericPackedTensorAccessorINS7_14TensorAccessorINS3_8ArrayRefIlEEKT_Lm4ENS6_16DefaultPtrTraitsEiEENS_6detail16IndexBoundsCheckILm5EiEESD_Lm5ESE_iEESJ_NS8_INS9_ISB_SC_Lm4ESE_iEESI_SC_Lm5ESE_iEEiiiiiiiii.num_named_barrier, 0
	.set _ZN2at6native12_GLOBAL__N_144conv_depthwise3d_cuda_backward_weight_kernelIN3c104HalfEfLin1ELin1EEEvN5torch10headeronly6detail27GenericPackedTensorAccessorINS7_14TensorAccessorINS3_8ArrayRefIlEEKT_Lm4ENS6_16DefaultPtrTraitsEiEENS_6detail16IndexBoundsCheckILm5EiEESD_Lm5ESE_iEESJ_NS8_INS9_ISB_SC_Lm4ESE_iEESI_SC_Lm5ESE_iEEiiiiiiiii.private_seg_size, 0
	.set _ZN2at6native12_GLOBAL__N_144conv_depthwise3d_cuda_backward_weight_kernelIN3c104HalfEfLin1ELin1EEEvN5torch10headeronly6detail27GenericPackedTensorAccessorINS7_14TensorAccessorINS3_8ArrayRefIlEEKT_Lm4ENS6_16DefaultPtrTraitsEiEENS_6detail16IndexBoundsCheckILm5EiEESD_Lm5ESE_iEESJ_NS8_INS9_ISB_SC_Lm4ESE_iEESI_SC_Lm5ESE_iEEiiiiiiiii.uses_vcc, 1
	.set _ZN2at6native12_GLOBAL__N_144conv_depthwise3d_cuda_backward_weight_kernelIN3c104HalfEfLin1ELin1EEEvN5torch10headeronly6detail27GenericPackedTensorAccessorINS7_14TensorAccessorINS3_8ArrayRefIlEEKT_Lm4ENS6_16DefaultPtrTraitsEiEENS_6detail16IndexBoundsCheckILm5EiEESD_Lm5ESE_iEESJ_NS8_INS9_ISB_SC_Lm4ESE_iEESI_SC_Lm5ESE_iEEiiiiiiiii.uses_flat_scratch, 0
	.set _ZN2at6native12_GLOBAL__N_144conv_depthwise3d_cuda_backward_weight_kernelIN3c104HalfEfLin1ELin1EEEvN5torch10headeronly6detail27GenericPackedTensorAccessorINS7_14TensorAccessorINS3_8ArrayRefIlEEKT_Lm4ENS6_16DefaultPtrTraitsEiEENS_6detail16IndexBoundsCheckILm5EiEESD_Lm5ESE_iEESJ_NS8_INS9_ISB_SC_Lm4ESE_iEESI_SC_Lm5ESE_iEEiiiiiiiii.has_dyn_sized_stack, 0
	.set _ZN2at6native12_GLOBAL__N_144conv_depthwise3d_cuda_backward_weight_kernelIN3c104HalfEfLin1ELin1EEEvN5torch10headeronly6detail27GenericPackedTensorAccessorINS7_14TensorAccessorINS3_8ArrayRefIlEEKT_Lm4ENS6_16DefaultPtrTraitsEiEENS_6detail16IndexBoundsCheckILm5EiEESD_Lm5ESE_iEESJ_NS8_INS9_ISB_SC_Lm4ESE_iEESI_SC_Lm5ESE_iEEiiiiiiiii.has_recursion, 0
	.set _ZN2at6native12_GLOBAL__N_144conv_depthwise3d_cuda_backward_weight_kernelIN3c104HalfEfLin1ELin1EEEvN5torch10headeronly6detail27GenericPackedTensorAccessorINS7_14TensorAccessorINS3_8ArrayRefIlEEKT_Lm4ENS6_16DefaultPtrTraitsEiEENS_6detail16IndexBoundsCheckILm5EiEESD_Lm5ESE_iEESJ_NS8_INS9_ISB_SC_Lm4ESE_iEESI_SC_Lm5ESE_iEEiiiiiiiii.has_indirect_call, 0
	.section	.AMDGPU.csdata,"",@progbits
; Kernel info:
; codeLenInByte = 1964
; TotalNumSgprs: 51
; NumVgprs: 19
; ScratchSize: 0
; MemoryBound: 0
; FloatMode: 240
; IeeeMode: 1
; LDSByteSize: 0 bytes/workgroup (compile time only)
; SGPRBlocks: 0
; VGPRBlocks: 2
; NumSGPRsForWavesPerEU: 51
; NumVGPRsForWavesPerEU: 19
; Occupancy: 16
; WaveLimiterHint : 1
; COMPUTE_PGM_RSRC2:SCRATCH_EN: 0
; COMPUTE_PGM_RSRC2:USER_SGPR: 6
; COMPUTE_PGM_RSRC2:TRAP_HANDLER: 0
; COMPUTE_PGM_RSRC2:TGID_X_EN: 1
; COMPUTE_PGM_RSRC2:TGID_Y_EN: 0
; COMPUTE_PGM_RSRC2:TGID_Z_EN: 0
; COMPUTE_PGM_RSRC2:TIDIG_COMP_CNT: 0
	.section	.text._ZN2at6native12_GLOBAL__N_144conv_depthwise3d_cuda_backward_weight_kernelIN3c108BFloat16EfLi1ELi1EEEvN5torch10headeronly6detail27GenericPackedTensorAccessorINS7_14TensorAccessorINS3_8ArrayRefIlEEKT_Lm4ENS6_16DefaultPtrTraitsEiEENS_6detail16IndexBoundsCheckILm5EiEESD_Lm5ESE_iEESJ_NS8_INS9_ISB_SC_Lm4ESE_iEESI_SC_Lm5ESE_iEEiiiiiiiii,"axG",@progbits,_ZN2at6native12_GLOBAL__N_144conv_depthwise3d_cuda_backward_weight_kernelIN3c108BFloat16EfLi1ELi1EEEvN5torch10headeronly6detail27GenericPackedTensorAccessorINS7_14TensorAccessorINS3_8ArrayRefIlEEKT_Lm4ENS6_16DefaultPtrTraitsEiEENS_6detail16IndexBoundsCheckILm5EiEESD_Lm5ESE_iEESJ_NS8_INS9_ISB_SC_Lm4ESE_iEESI_SC_Lm5ESE_iEEiiiiiiiii,comdat
	.globl	_ZN2at6native12_GLOBAL__N_144conv_depthwise3d_cuda_backward_weight_kernelIN3c108BFloat16EfLi1ELi1EEEvN5torch10headeronly6detail27GenericPackedTensorAccessorINS7_14TensorAccessorINS3_8ArrayRefIlEEKT_Lm4ENS6_16DefaultPtrTraitsEiEENS_6detail16IndexBoundsCheckILm5EiEESD_Lm5ESE_iEESJ_NS8_INS9_ISB_SC_Lm4ESE_iEESI_SC_Lm5ESE_iEEiiiiiiiii ; -- Begin function _ZN2at6native12_GLOBAL__N_144conv_depthwise3d_cuda_backward_weight_kernelIN3c108BFloat16EfLi1ELi1EEEvN5torch10headeronly6detail27GenericPackedTensorAccessorINS7_14TensorAccessorINS3_8ArrayRefIlEEKT_Lm4ENS6_16DefaultPtrTraitsEiEENS_6detail16IndexBoundsCheckILm5EiEESD_Lm5ESE_iEESJ_NS8_INS9_ISB_SC_Lm4ESE_iEESI_SC_Lm5ESE_iEEiiiiiiiii
	.p2align	8
	.type	_ZN2at6native12_GLOBAL__N_144conv_depthwise3d_cuda_backward_weight_kernelIN3c108BFloat16EfLi1ELi1EEEvN5torch10headeronly6detail27GenericPackedTensorAccessorINS7_14TensorAccessorINS3_8ArrayRefIlEEKT_Lm4ENS6_16DefaultPtrTraitsEiEENS_6detail16IndexBoundsCheckILm5EiEESD_Lm5ESE_iEESJ_NS8_INS9_ISB_SC_Lm4ESE_iEESI_SC_Lm5ESE_iEEiiiiiiiii,@function
_ZN2at6native12_GLOBAL__N_144conv_depthwise3d_cuda_backward_weight_kernelIN3c108BFloat16EfLi1ELi1EEEvN5torch10headeronly6detail27GenericPackedTensorAccessorINS7_14TensorAccessorINS3_8ArrayRefIlEEKT_Lm4ENS6_16DefaultPtrTraitsEiEENS_6detail16IndexBoundsCheckILm5EiEESD_Lm5ESE_iEESJ_NS8_INS9_ISB_SC_Lm4ESE_iEESI_SC_Lm5ESE_iEEiiiiiiiii: ; @_ZN2at6native12_GLOBAL__N_144conv_depthwise3d_cuda_backward_weight_kernelIN3c108BFloat16EfLi1ELi1EEEvN5torch10headeronly6detail27GenericPackedTensorAccessorINS7_14TensorAccessorINS3_8ArrayRefIlEEKT_Lm4ENS6_16DefaultPtrTraitsEiEENS_6detail16IndexBoundsCheckILm5EiEESD_Lm5ESE_iEESJ_NS8_INS9_ISB_SC_Lm4ESE_iEESI_SC_Lm5ESE_iEEiiiiiiiii
; %bb.0:
	s_load_dwordx4 s[0:3], s[4:5], 0x70
	s_add_u32 s8, s4, 0x60
	s_addc_u32 s9, s5, 0
	s_waitcnt lgkmcnt(0)
	v_cvt_f32_u32_e32 v1, s2
	v_cvt_f32_u32_e32 v2, s1
	s_sub_i32 s10, 0, s2
	v_rcp_iflag_f32_e32 v1, v1
	v_rcp_iflag_f32_e32 v2, v2
	v_mul_f32_e32 v1, 0x4f7ffffe, v1
	v_mul_f32_e32 v2, 0x4f7ffffe, v2
	v_cvt_u32_f32_e32 v1, v1
	v_cvt_u32_f32_e32 v2, v2
	v_readfirstlane_b32 s7, v1
	v_cvt_f32_u32_e32 v1, s0
	v_readfirstlane_b32 s13, v2
	s_mul_i32 s10, s10, s7
	v_rcp_iflag_f32_e32 v1, v1
	s_mul_hi_u32 s10, s7, s10
	s_add_i32 s7, s7, s10
	s_mul_hi_u32 s7, s6, s7
	s_mul_i32 s10, s7, s2
	s_add_i32 s11, s7, 1
	s_sub_i32 s10, s6, s10
	v_mul_f32_e32 v1, 0x4f7ffffe, v1
	s_sub_i32 s12, s10, s2
	s_cmp_ge_u32 s10, s2
	s_cselect_b32 s7, s11, s7
	s_cselect_b32 s10, s12, s10
	s_add_i32 s11, s7, 1
	s_cmp_ge_u32 s10, s2
	v_cvt_u32_f32_e32 v1, v1
	s_cselect_b32 s20, s11, s7
	s_sub_i32 s7, 0, s1
	s_mul_i32 s7, s7, s13
	v_readfirstlane_b32 s16, v1
	s_mul_hi_u32 s7, s13, s7
	s_add_i32 s13, s13, s7
	s_mul_hi_u32 s7, s20, s13
	s_mul_i32 s10, s7, s1
	s_add_i32 s11, s7, 1
	s_sub_i32 s10, s20, s10
	s_sub_i32 s12, s10, s1
	s_cmp_ge_u32 s10, s1
	s_cselect_b32 s7, s11, s7
	s_cselect_b32 s10, s12, s10
	s_add_i32 s11, s7, 1
	s_cmp_ge_u32 s10, s1
	s_load_dwordx4 s[12:15], s[4:5], 0x3c
	s_cselect_b32 s21, s11, s7
	s_sub_i32 s7, 0, s0
	s_mul_i32 s7, s7, s16
	s_mul_hi_u32 s7, s16, s7
	s_add_i32 s16, s16, s7
	s_mul_hi_u32 s7, s21, s16
	s_mul_i32 s10, s7, s0
	s_add_i32 s11, s7, 1
	s_sub_i32 s10, s21, s10
	s_sub_i32 s16, s10, s0
	s_cmp_ge_u32 s10, s0
	s_cselect_b32 s7, s11, s7
	s_cselect_b32 s10, s16, s10
	s_add_i32 s11, s7, 1
	s_cmp_ge_u32 s10, s0
	s_load_dwordx4 s[16:19], s[4:5], 0xc
	s_cselect_b32 s7, s11, s7
	s_waitcnt lgkmcnt(0)
	s_abs_i32 s10, s12
	v_cvt_f32_u32_e32 v1, s10
	s_sub_i32 s22, 0, s10
	v_rcp_iflag_f32_e32 v1, v1
	v_mul_f32_e32 v1, 0x4f7ffffe, v1
	s_abs_i32 s23, s16
	s_xor_b32 s12, s16, s12
	s_ashr_i32 s12, s12, 31
	v_cvt_u32_f32_e32 v1, v1
	v_readfirstlane_b32 s11, v1
	s_mul_i32 s22, s22, s11
	s_mul_hi_u32 s22, s11, s22
	s_add_i32 s11, s11, s22
	s_mul_hi_u32 s11, s23, s11
	s_mul_i32 s16, s11, s10
	s_add_i32 s22, s11, 1
	s_sub_i32 s16, s23, s16
	s_sub_i32 s23, s16, s10
	s_cmp_ge_u32 s16, s10
	s_cselect_b32 s11, s22, s11
	s_cselect_b32 s16, s23, s16
	s_add_i32 s22, s11, 1
	s_cmp_ge_u32 s16, s10
	s_cselect_b32 s10, s22, s11
	s_xor_b32 s10, s10, s12
	s_sub_i32 s22, s10, s12
	s_load_dword s10, s[4:5], 0x68
	s_abs_i32 s39, s22
	v_cvt_f32_u32_e32 v1, s39
	v_rcp_iflag_f32_e32 v1, v1
	v_mul_f32_e32 v1, 0x4f7ffffe, v1
	s_waitcnt lgkmcnt(0)
	s_cmp_ge_i32 s7, s10
	v_cvt_u32_f32_e32 v1, v1
	v_readfirstlane_b32 s23, v1
	s_cbranch_scc1 .LBB41_32
; %bb.1:
	s_clause 0x1
	s_load_dword s36, s[4:5], 0x38
	s_load_dword s24, s[4:5], 0xc4
	s_clause 0x1
	s_load_dwordx2 s[34:35], s[8:9], 0x0
	s_load_dwordx4 s[8:11], s[8:9], 0x24
	v_lshrrev_b32_e32 v4, 5, v0
	v_mov_b32_e32 v5, 0
	s_mul_i32 s2, s20, s2
	s_mul_i32 s1, s21, s1
	s_mul_i32 s0, s7, s0
	s_sub_i32 s6, s6, s2
	s_sub_i32 s12, s20, s1
	;; [unrolled: 1-line block ×3, first 2 shown]
	s_mov_b32 s37, exec_lo
	s_waitcnt lgkmcnt(0)
	s_mul_i32 s36, s36, s17
	s_and_b32 s33, s24, 0xffff
	v_cmpx_gt_i32_e64 s36, v4
	s_cbranch_execz .LBB41_23
; %bb.2:
	s_sub_i32 s0, 0, s39
	s_abs_i32 s25, s7
	s_mul_i32 s0, s0, s23
	s_ashr_i32 s24, s22, 31
	s_mul_hi_u32 s0, s23, s0
	s_ashr_i32 s2, s7, 31
	s_add_i32 s23, s23, s0
	s_xor_b32 s2, s2, s24
	s_mul_hi_u32 s40, s25, s23
	s_clause 0x2
	s_load_dwordx4 s[28:31], s[4:5], 0x9c
	s_load_dwordx2 s[0:1], s[4:5], 0x0
	s_load_dwordx4 s[20:23], s[4:5], 0x1c
	s_waitcnt lgkmcnt(0)
	s_mul_i32 s23, s40, s39
	s_lshr_b32 s38, s33, 5
	s_sub_i32 s23, s25, s23
	s_load_dwordx4 s[24:27], s[4:5], 0x4c
	s_add_i32 s41, s40, 1
	s_sub_i32 s42, s23, s39
	s_cmp_ge_u32 s23, s39
	s_waitcnt lgkmcnt(0)
	s_cselect_b32 s27, s41, s40
	s_load_dwordx2 s[40:41], s[4:5], 0x30
	s_cselect_b32 s23, s42, s23
	s_add_i32 s42, s27, 1
	s_cmp_ge_u32 s23, s39
	s_cselect_b32 s23, s42, s27
	s_load_dwordx2 s[42:43], s[4:5], 0xac
	s_xor_b32 s23, s23, s2
	s_abs_i32 s39, s17
	s_sub_i32 s2, s23, s2
	s_mul_i32 s4, s21, s7
	s_mul_i32 s21, s16, s31
	s_ashr_i32 s5, s4, 31
	s_ashr_i32 s27, s17, 31
	s_lshl_b64 s[44:45], s[4:5], 1
	s_sub_i32 s46, 0, s39
	s_sub_i32 s4, s21, s28
	v_cvt_f32_u32_e32 v1, s39
	s_add_u32 s5, s0, s44
	s_mul_i32 s0, s25, s2
	s_addc_u32 s21, s1, s45
	s_ashr_i32 s1, s0, 31
	v_rcp_iflag_f32_e32 v1, v1
	s_lshl_b64 s[0:1], s[0:1], 1
	s_waitcnt lgkmcnt(0)
	s_add_u32 s23, s40, s0
	s_addc_u32 s25, s41, s1
	s_abs_i32 s1, s19
	v_cvt_f32_u32_e32 v2, s1
	s_sub_i32 s0, 0, s1
	v_mul_f32_e32 v1, 0x4f7ffffe, v1
	v_rcp_iflag_f32_e32 v2, v2
	v_cvt_u32_f32_e32 v1, v1
	v_mul_lo_u32 v3, s46, v1
	v_mul_f32_e32 v2, 0x4f7ffffe, v2
	v_cvt_u32_f32_e32 v2, v2
	v_mul_hi_u32 v3, v1, v3
	v_mul_lo_u32 v5, s0, v2
	v_add_nc_u32_e32 v1, v1, v3
	v_and_b32_e32 v3, 31, v0
	v_mul_hi_u32 v5, v2, v5
	v_mul_hi_u32 v1, v4, v1
	v_add_nc_u32_e32 v2, v2, v5
	v_mul_lo_u32 v5, v1, s39
	v_add_nc_u32_e32 v7, 1, v1
	v_mul_hi_u32 v2, v3, v2
	v_sub_nc_u32_e32 v5, v4, v5
	v_mul_lo_u32 v6, v2, s1
	v_cmp_le_u32_e32 vcc_lo, s39, v5
	v_add_nc_u32_e32 v8, 1, v2
	v_cndmask_b32_e32 v1, v1, v7, vcc_lo
	v_subrev_nc_u32_e32 v7, s39, v5
	v_sub_nc_u32_e32 v6, v3, v6
	v_cndmask_b32_e32 v5, v5, v7, vcc_lo
	v_subrev_nc_u32_e32 v9, s1, v6
	v_cmp_le_u32_e64 s0, s1, v6
	v_add_nc_u32_e32 v7, 1, v1
	v_cmp_le_u32_e32 vcc_lo, s39, v5
	v_mov_b32_e32 v5, 0
	v_cndmask_b32_e64 v2, v2, v8, s0
	v_cndmask_b32_e64 v6, v6, v9, s0
	s_ashr_i32 s0, s19, 31
	v_cndmask_b32_e32 v1, v1, v7, vcc_lo
	v_lshlrev_b32_e32 v9, 1, v3
	v_add_nc_u32_e32 v8, 1, v2
	v_cmp_le_u32_e32 vcc_lo, s1, v6
	s_mul_i32 s1, s12, s42
	v_xor_b32_e32 v1, s27, v1
	s_sub_i32 s29, s1, s29
	v_cndmask_b32_e32 v2, v2, v8, vcc_lo
	v_mov_b32_e32 v8, 0
	v_subrev_nc_u32_e32 v6, s27, v1
	s_mov_b32 s27, 0
	v_xor_b32_e32 v2, s0, v2
	v_mul_lo_u32 v1, v6, s17
	v_subrev_nc_u32_e32 v7, s0, v2
	s_mul_i32 s0, s6, s43
	s_sub_i32 s28, s0, s30
	v_mul_lo_u32 v2, v7, s19
	v_sub_nc_u32_e32 v10, v4, v1
	v_cmp_gt_i32_e32 vcc_lo, s18, v7
	v_sub_nc_u32_e32 v11, v3, v2
	s_branch .LBB41_6
.LBB41_3:                               ;   in Loop: Header=BB41_6 Depth=1
	s_or_b32 exec_lo, exec_lo, s39
.LBB41_4:                               ;   in Loop: Header=BB41_6 Depth=1
	s_or_b32 exec_lo, exec_lo, s31
.LBB41_5:                               ;   in Loop: Header=BB41_6 Depth=1
	s_or_b32 exec_lo, exec_lo, s30
	v_add_nc_u32_e32 v4, s38, v4
	v_add_nc_u32_e32 v10, s38, v10
	v_cmp_le_i32_e64 s0, s36, v4
	s_or_b32 s27, s0, s27
	s_andn2_b32 exec_lo, exec_lo, s27
	s_cbranch_execz .LBB41_22
.LBB41_6:                               ; =>This Loop Header: Depth=1
                                        ;     Child Loop BB41_8 Depth 2
                                        ;     Child Loop BB41_14 Depth 2
                                        ;       Child Loop BB41_20 Depth 3
	s_mov_b32 s1, exec_lo
	v_cmpx_le_i32_e64 s17, v10
	s_cbranch_execz .LBB41_10
; %bb.7:                                ;   in Loop: Header=BB41_6 Depth=1
	s_mov_b32 s2, 0
.LBB41_8:                               ;   Parent Loop BB41_6 Depth=1
                                        ; =>  This Inner Loop Header: Depth=2
	v_subrev_nc_u32_e32 v10, s17, v10
	v_add_nc_u32_e32 v6, 1, v6
	v_cmp_gt_i32_e64 s0, s17, v10
	s_or_b32 s2, s0, s2
	s_andn2_b32 exec_lo, exec_lo, s2
	s_cbranch_execnz .LBB41_8
; %bb.9:                                ;   in Loop: Header=BB41_6 Depth=1
	s_or_b32 exec_lo, exec_lo, s2
.LBB41_10:                              ;   in Loop: Header=BB41_6 Depth=1
	s_or_b32 exec_lo, exec_lo, s1
	v_mad_u64_u32 v[1:2], null, v10, s11, s[4:5]
	v_cmp_lt_i32_e64 s0, -1, v1
	v_cmp_gt_i32_e64 s1, s13, v1
	s_and_b32 s0, s0, s1
	s_and_saveexec_b32 s30, s0
	s_cbranch_execz .LBB41_5
; %bb.11:                               ;   in Loop: Header=BB41_6 Depth=1
	s_and_saveexec_b32 s31, vcc_lo
	s_cbranch_execz .LBB41_4
; %bb.12:                               ;   in Loop: Header=BB41_6 Depth=1
	v_mul_lo_u32 v2, s20, v6
	v_mul_lo_u32 v12, s24, v6
	;; [unrolled: 1-line block ×4, first 2 shown]
	s_mov_b32 s39, 0
	v_ashrrev_i32_e32 v3, 31, v2
	v_ashrrev_i32_e32 v13, 31, v12
	;; [unrolled: 1-line block ×4, first 2 shown]
	v_lshlrev_b64 v[1:2], 1, v[2:3]
	v_lshlrev_b64 v[12:13], 1, v[12:13]
	;; [unrolled: 1-line block ×4, first 2 shown]
	v_add_co_u32 v1, s0, s5, v1
	v_add_co_ci_u32_e64 v2, null, s21, v2, s0
	v_add_co_u32 v3, s0, s23, v12
	v_add_co_ci_u32_e64 v13, null, s25, v13, s0
	;; [unrolled: 2-line block ×5, first 2 shown]
	v_mov_b32_e32 v14, v11
	v_mov_b32_e32 v15, v7
	s_branch .LBB41_14
.LBB41_13:                              ;   in Loop: Header=BB41_14 Depth=2
	s_or_b32 exec_lo, exec_lo, s1
	s_waitcnt vmcnt(0)
	v_lshlrev_b32_e32 v3, 16, v16
	v_cmp_le_i32_e64 s0, s18, v15
	v_add_co_u32 v1, s1, v1, 64
	v_add_co_ci_u32_e64 v2, null, 0, v2, s1
	v_fmac_f32_e32 v5, v17, v3
	s_or_b32 s39, s0, s39
	s_andn2_b32 exec_lo, exec_lo, s39
	s_cbranch_execz .LBB41_3
.LBB41_14:                              ;   Parent Loop BB41_6 Depth=1
                                        ; =>  This Loop Header: Depth=2
                                        ;       Child Loop BB41_20 Depth 3
	global_load_ushort v16, v[1:2], off
	v_add_nc_u32_e32 v3, s28, v14
	v_mov_b32_e32 v17, 0
	s_mov_b32 s40, exec_lo
	v_cmpx_lt_i32_e32 -1, v3
	s_cbranch_execz .LBB41_18
; %bb.15:                               ;   in Loop: Header=BB41_14 Depth=2
	v_add_nc_u32_e32 v18, s29, v15
	v_cmp_gt_i32_e64 s0, s15, v3
	v_mov_b32_e32 v17, 0
	v_cmp_gt_i32_e64 s1, s14, v18
	v_cmp_lt_i32_e64 s2, -1, v18
	s_and_b32 s0, s0, s1
	s_and_b32 s0, s0, s2
	s_and_saveexec_b32 s1, s0
	s_cbranch_execz .LBB41_17
; %bb.16:                               ;   in Loop: Header=BB41_14 Depth=2
	v_mad_u64_u32 v[17:18], null, v18, s15, v[3:4]
	v_mov_b32_e32 v18, v8
	v_lshlrev_b64 v[17:18], 1, v[17:18]
	v_add_co_u32 v17, s0, v12, v17
	v_add_co_ci_u32_e64 v18, null, v13, v18, s0
	global_load_ushort v3, v[17:18], off
	s_waitcnt vmcnt(0)
	v_lshlrev_b32_e32 v17, 16, v3
.LBB41_17:                              ;   in Loop: Header=BB41_14 Depth=2
	s_or_b32 exec_lo, exec_lo, s1
.LBB41_18:                              ;   in Loop: Header=BB41_14 Depth=2
	s_or_b32 exec_lo, exec_lo, s40
	v_add_nc_u32_e32 v14, 32, v14
	s_mov_b32 s1, exec_lo
	v_cmpx_le_i32_e64 s19, v14
	s_cbranch_execz .LBB41_13
; %bb.19:                               ;   in Loop: Header=BB41_14 Depth=2
	s_mov_b32 s2, 0
.LBB41_20:                              ;   Parent Loop BB41_6 Depth=1
                                        ;     Parent Loop BB41_14 Depth=2
                                        ; =>    This Inner Loop Header: Depth=3
	v_subrev_nc_u32_e32 v14, s19, v14
	v_add_nc_u32_e32 v15, 1, v15
	v_cmp_gt_i32_e64 s0, s19, v14
	s_or_b32 s2, s0, s2
	s_andn2_b32 exec_lo, exec_lo, s2
	s_cbranch_execnz .LBB41_20
; %bb.21:                               ;   in Loop: Header=BB41_14 Depth=2
	s_or_b32 exec_lo, exec_lo, s2
	s_branch .LBB41_13
.LBB41_22:
	s_or_b32 exec_lo, exec_lo, s27
.LBB41_23:
	s_or_b32 exec_lo, exec_lo, s37
	v_bfe_u32 v1, v5, 16, 1
	v_cmp_o_f32_e32 vcc_lo, v5, v5
	v_mov_b32_e32 v2, 0x7fc0
	s_bcnt1_i32_b32 s1, s33
	s_mov_b32 s0, -1
	v_add3_u32 v3, v5, v1, 0x7fff
	v_lshl_add_u32 v1, v0, 1, 0
	s_cmp_lg_u32 s1, 1
	v_cndmask_b32_sdwa v2, v2, v3, vcc_lo dst_sel:DWORD dst_unused:UNUSED_PAD src0_sel:DWORD src1_sel:WORD_1
	ds_write_b16 v1, v2
	s_waitcnt lgkmcnt(0)
	s_barrier
	buffer_gl0_inv
	s_cbranch_scc1 .LBB41_33
; %bb.24:
	s_andn2_b32 vcc_lo, exec_lo, s0
	s_cbranch_vccnz .LBB41_32
.LBB41_25:
	s_cmp_lt_u32 s33, 2
	s_cbranch_scc1 .LBB41_30
; %bb.26:
	v_mov_b32_e32 v2, 0x7fc0
	s_inst_prefetch 0x1
	s_branch .LBB41_28
	.p2align	6
.LBB41_27:                              ;   in Loop: Header=BB41_28 Depth=1
	s_or_b32 exec_lo, exec_lo, s1
	s_cmp_lt_u32 s33, 4
	s_mov_b32 s33, s0
	s_waitcnt lgkmcnt(0)
	s_barrier
	buffer_gl0_inv
	s_cbranch_scc1 .LBB41_30
.LBB41_28:                              ; =>This Inner Loop Header: Depth=1
	s_lshr_b32 s0, s33, 1
	s_mov_b32 s1, exec_lo
	v_cmpx_gt_u32_e64 s0, v0
	s_cbranch_execz .LBB41_27
; %bb.29:                               ;   in Loop: Header=BB41_28 Depth=1
	v_lshl_add_u32 v3, s0, 1, v1
	ds_read_u16 v3, v3
	ds_read_u16 v4, v1
	s_waitcnt lgkmcnt(1)
	v_lshlrev_b32_e32 v3, 16, v3
	s_waitcnt lgkmcnt(0)
	v_lshlrev_b32_e32 v4, 16, v4
	v_add_f32_e32 v3, v3, v4
	v_bfe_u32 v4, v3, 16, 1
	v_cmp_o_f32_e32 vcc_lo, v3, v3
	v_add3_u32 v3, v3, v4, 0x7fff
	v_cndmask_b32_sdwa v3, v2, v3, vcc_lo dst_sel:DWORD dst_unused:UNUSED_PAD src0_sel:DWORD src1_sel:WORD_1
	ds_write_b16 v1, v3
	s_branch .LBB41_27
.LBB41_30:
	s_inst_prefetch 0x2
	s_mov_b32 s0, exec_lo
	v_cmpx_eq_u32_e32 0, v0
	s_cbranch_execz .LBB41_32
; %bb.31:
	s_mul_i32 s0, s3, s7
	v_mov_b32_e32 v0, 0
	s_ashr_i32 s1, s0, 31
	s_mul_i32 s2, s8, s16
	s_lshl_b64 s[0:1], s[0:1], 1
	ds_read_u16 v1, v0
	s_add_u32 s4, s34, s0
	s_addc_u32 s5, s35, s1
	s_ashr_i32 s3, s2, 31
	s_lshl_b64 s[0:1], s[2:3], 1
	s_mul_i32 s2, s9, s12
	s_add_u32 s4, s4, s0
	s_addc_u32 s5, s5, s1
	s_ashr_i32 s3, s2, 31
	s_lshl_b64 s[0:1], s[2:3], 1
	s_add_u32 s2, s4, s0
	s_mul_i32 s0, s10, s6
	s_addc_u32 s3, s5, s1
	s_ashr_i32 s1, s0, 31
	s_lshl_b64 s[0:1], s[0:1], 1
	s_add_u32 s0, s2, s0
	s_addc_u32 s1, s3, s1
	s_waitcnt lgkmcnt(0)
	global_store_short v0, v1, s[0:1]
.LBB41_32:
	s_endpgm
.LBB41_33:
	s_trap 2
	; divergent unreachable
	s_cbranch_execz .LBB41_25
	s_branch .LBB41_32
	.section	.rodata,"a",@progbits
	.p2align	6, 0x0
	.amdhsa_kernel _ZN2at6native12_GLOBAL__N_144conv_depthwise3d_cuda_backward_weight_kernelIN3c108BFloat16EfLi1ELi1EEEvN5torch10headeronly6detail27GenericPackedTensorAccessorINS7_14TensorAccessorINS3_8ArrayRefIlEEKT_Lm4ENS6_16DefaultPtrTraitsEiEENS_6detail16IndexBoundsCheckILm5EiEESD_Lm5ESE_iEESJ_NS8_INS9_ISB_SC_Lm4ESE_iEESI_SC_Lm5ESE_iEEiiiiiiiii
		.amdhsa_group_segment_fixed_size 0
		.amdhsa_private_segment_fixed_size 0
		.amdhsa_kernarg_size 440
		.amdhsa_user_sgpr_count 6
		.amdhsa_user_sgpr_private_segment_buffer 1
		.amdhsa_user_sgpr_dispatch_ptr 0
		.amdhsa_user_sgpr_queue_ptr 0
		.amdhsa_user_sgpr_kernarg_segment_ptr 1
		.amdhsa_user_sgpr_dispatch_id 0
		.amdhsa_user_sgpr_flat_scratch_init 0
		.amdhsa_user_sgpr_private_segment_size 0
		.amdhsa_wavefront_size32 1
		.amdhsa_uses_dynamic_stack 0
		.amdhsa_system_sgpr_private_segment_wavefront_offset 0
		.amdhsa_system_sgpr_workgroup_id_x 1
		.amdhsa_system_sgpr_workgroup_id_y 0
		.amdhsa_system_sgpr_workgroup_id_z 0
		.amdhsa_system_sgpr_workgroup_info 0
		.amdhsa_system_vgpr_workitem_id 0
		.amdhsa_next_free_vgpr 19
		.amdhsa_next_free_sgpr 47
		.amdhsa_reserve_vcc 1
		.amdhsa_reserve_flat_scratch 0
		.amdhsa_float_round_mode_32 0
		.amdhsa_float_round_mode_16_64 0
		.amdhsa_float_denorm_mode_32 3
		.amdhsa_float_denorm_mode_16_64 3
		.amdhsa_dx10_clamp 1
		.amdhsa_ieee_mode 1
		.amdhsa_fp16_overflow 0
		.amdhsa_workgroup_processor_mode 1
		.amdhsa_memory_ordered 1
		.amdhsa_forward_progress 1
		.amdhsa_shared_vgpr_count 0
		.amdhsa_exception_fp_ieee_invalid_op 0
		.amdhsa_exception_fp_denorm_src 0
		.amdhsa_exception_fp_ieee_div_zero 0
		.amdhsa_exception_fp_ieee_overflow 0
		.amdhsa_exception_fp_ieee_underflow 0
		.amdhsa_exception_fp_ieee_inexact 0
		.amdhsa_exception_int_div_zero 0
	.end_amdhsa_kernel
	.section	.text._ZN2at6native12_GLOBAL__N_144conv_depthwise3d_cuda_backward_weight_kernelIN3c108BFloat16EfLi1ELi1EEEvN5torch10headeronly6detail27GenericPackedTensorAccessorINS7_14TensorAccessorINS3_8ArrayRefIlEEKT_Lm4ENS6_16DefaultPtrTraitsEiEENS_6detail16IndexBoundsCheckILm5EiEESD_Lm5ESE_iEESJ_NS8_INS9_ISB_SC_Lm4ESE_iEESI_SC_Lm5ESE_iEEiiiiiiiii,"axG",@progbits,_ZN2at6native12_GLOBAL__N_144conv_depthwise3d_cuda_backward_weight_kernelIN3c108BFloat16EfLi1ELi1EEEvN5torch10headeronly6detail27GenericPackedTensorAccessorINS7_14TensorAccessorINS3_8ArrayRefIlEEKT_Lm4ENS6_16DefaultPtrTraitsEiEENS_6detail16IndexBoundsCheckILm5EiEESD_Lm5ESE_iEESJ_NS8_INS9_ISB_SC_Lm4ESE_iEESI_SC_Lm5ESE_iEEiiiiiiiii,comdat
.Lfunc_end41:
	.size	_ZN2at6native12_GLOBAL__N_144conv_depthwise3d_cuda_backward_weight_kernelIN3c108BFloat16EfLi1ELi1EEEvN5torch10headeronly6detail27GenericPackedTensorAccessorINS7_14TensorAccessorINS3_8ArrayRefIlEEKT_Lm4ENS6_16DefaultPtrTraitsEiEENS_6detail16IndexBoundsCheckILm5EiEESD_Lm5ESE_iEESJ_NS8_INS9_ISB_SC_Lm4ESE_iEESI_SC_Lm5ESE_iEEiiiiiiiii, .Lfunc_end41-_ZN2at6native12_GLOBAL__N_144conv_depthwise3d_cuda_backward_weight_kernelIN3c108BFloat16EfLi1ELi1EEEvN5torch10headeronly6detail27GenericPackedTensorAccessorINS7_14TensorAccessorINS3_8ArrayRefIlEEKT_Lm4ENS6_16DefaultPtrTraitsEiEENS_6detail16IndexBoundsCheckILm5EiEESD_Lm5ESE_iEESJ_NS8_INS9_ISB_SC_Lm4ESE_iEESI_SC_Lm5ESE_iEEiiiiiiiii
                                        ; -- End function
	.set _ZN2at6native12_GLOBAL__N_144conv_depthwise3d_cuda_backward_weight_kernelIN3c108BFloat16EfLi1ELi1EEEvN5torch10headeronly6detail27GenericPackedTensorAccessorINS7_14TensorAccessorINS3_8ArrayRefIlEEKT_Lm4ENS6_16DefaultPtrTraitsEiEENS_6detail16IndexBoundsCheckILm5EiEESD_Lm5ESE_iEESJ_NS8_INS9_ISB_SC_Lm4ESE_iEESI_SC_Lm5ESE_iEEiiiiiiiii.num_vgpr, 19
	.set _ZN2at6native12_GLOBAL__N_144conv_depthwise3d_cuda_backward_weight_kernelIN3c108BFloat16EfLi1ELi1EEEvN5torch10headeronly6detail27GenericPackedTensorAccessorINS7_14TensorAccessorINS3_8ArrayRefIlEEKT_Lm4ENS6_16DefaultPtrTraitsEiEENS_6detail16IndexBoundsCheckILm5EiEESD_Lm5ESE_iEESJ_NS8_INS9_ISB_SC_Lm4ESE_iEESI_SC_Lm5ESE_iEEiiiiiiiii.num_agpr, 0
	.set _ZN2at6native12_GLOBAL__N_144conv_depthwise3d_cuda_backward_weight_kernelIN3c108BFloat16EfLi1ELi1EEEvN5torch10headeronly6detail27GenericPackedTensorAccessorINS7_14TensorAccessorINS3_8ArrayRefIlEEKT_Lm4ENS6_16DefaultPtrTraitsEiEENS_6detail16IndexBoundsCheckILm5EiEESD_Lm5ESE_iEESJ_NS8_INS9_ISB_SC_Lm4ESE_iEESI_SC_Lm5ESE_iEEiiiiiiiii.numbered_sgpr, 47
	.set _ZN2at6native12_GLOBAL__N_144conv_depthwise3d_cuda_backward_weight_kernelIN3c108BFloat16EfLi1ELi1EEEvN5torch10headeronly6detail27GenericPackedTensorAccessorINS7_14TensorAccessorINS3_8ArrayRefIlEEKT_Lm4ENS6_16DefaultPtrTraitsEiEENS_6detail16IndexBoundsCheckILm5EiEESD_Lm5ESE_iEESJ_NS8_INS9_ISB_SC_Lm4ESE_iEESI_SC_Lm5ESE_iEEiiiiiiiii.num_named_barrier, 0
	.set _ZN2at6native12_GLOBAL__N_144conv_depthwise3d_cuda_backward_weight_kernelIN3c108BFloat16EfLi1ELi1EEEvN5torch10headeronly6detail27GenericPackedTensorAccessorINS7_14TensorAccessorINS3_8ArrayRefIlEEKT_Lm4ENS6_16DefaultPtrTraitsEiEENS_6detail16IndexBoundsCheckILm5EiEESD_Lm5ESE_iEESJ_NS8_INS9_ISB_SC_Lm4ESE_iEESI_SC_Lm5ESE_iEEiiiiiiiii.private_seg_size, 0
	.set _ZN2at6native12_GLOBAL__N_144conv_depthwise3d_cuda_backward_weight_kernelIN3c108BFloat16EfLi1ELi1EEEvN5torch10headeronly6detail27GenericPackedTensorAccessorINS7_14TensorAccessorINS3_8ArrayRefIlEEKT_Lm4ENS6_16DefaultPtrTraitsEiEENS_6detail16IndexBoundsCheckILm5EiEESD_Lm5ESE_iEESJ_NS8_INS9_ISB_SC_Lm4ESE_iEESI_SC_Lm5ESE_iEEiiiiiiiii.uses_vcc, 1
	.set _ZN2at6native12_GLOBAL__N_144conv_depthwise3d_cuda_backward_weight_kernelIN3c108BFloat16EfLi1ELi1EEEvN5torch10headeronly6detail27GenericPackedTensorAccessorINS7_14TensorAccessorINS3_8ArrayRefIlEEKT_Lm4ENS6_16DefaultPtrTraitsEiEENS_6detail16IndexBoundsCheckILm5EiEESD_Lm5ESE_iEESJ_NS8_INS9_ISB_SC_Lm4ESE_iEESI_SC_Lm5ESE_iEEiiiiiiiii.uses_flat_scratch, 0
	.set _ZN2at6native12_GLOBAL__N_144conv_depthwise3d_cuda_backward_weight_kernelIN3c108BFloat16EfLi1ELi1EEEvN5torch10headeronly6detail27GenericPackedTensorAccessorINS7_14TensorAccessorINS3_8ArrayRefIlEEKT_Lm4ENS6_16DefaultPtrTraitsEiEENS_6detail16IndexBoundsCheckILm5EiEESD_Lm5ESE_iEESJ_NS8_INS9_ISB_SC_Lm4ESE_iEESI_SC_Lm5ESE_iEEiiiiiiiii.has_dyn_sized_stack, 0
	.set _ZN2at6native12_GLOBAL__N_144conv_depthwise3d_cuda_backward_weight_kernelIN3c108BFloat16EfLi1ELi1EEEvN5torch10headeronly6detail27GenericPackedTensorAccessorINS7_14TensorAccessorINS3_8ArrayRefIlEEKT_Lm4ENS6_16DefaultPtrTraitsEiEENS_6detail16IndexBoundsCheckILm5EiEESD_Lm5ESE_iEESJ_NS8_INS9_ISB_SC_Lm4ESE_iEESI_SC_Lm5ESE_iEEiiiiiiiii.has_recursion, 0
	.set _ZN2at6native12_GLOBAL__N_144conv_depthwise3d_cuda_backward_weight_kernelIN3c108BFloat16EfLi1ELi1EEEvN5torch10headeronly6detail27GenericPackedTensorAccessorINS7_14TensorAccessorINS3_8ArrayRefIlEEKT_Lm4ENS6_16DefaultPtrTraitsEiEENS_6detail16IndexBoundsCheckILm5EiEESD_Lm5ESE_iEESJ_NS8_INS9_ISB_SC_Lm4ESE_iEESI_SC_Lm5ESE_iEEiiiiiiiii.has_indirect_call, 0
	.section	.AMDGPU.csdata,"",@progbits
; Kernel info:
; codeLenInByte = 2068
; TotalNumSgprs: 49
; NumVgprs: 19
; ScratchSize: 0
; MemoryBound: 0
; FloatMode: 240
; IeeeMode: 1
; LDSByteSize: 0 bytes/workgroup (compile time only)
; SGPRBlocks: 0
; VGPRBlocks: 2
; NumSGPRsForWavesPerEU: 49
; NumVGPRsForWavesPerEU: 19
; Occupancy: 16
; WaveLimiterHint : 1
; COMPUTE_PGM_RSRC2:SCRATCH_EN: 0
; COMPUTE_PGM_RSRC2:USER_SGPR: 6
; COMPUTE_PGM_RSRC2:TRAP_HANDLER: 0
; COMPUTE_PGM_RSRC2:TGID_X_EN: 1
; COMPUTE_PGM_RSRC2:TGID_Y_EN: 0
; COMPUTE_PGM_RSRC2:TGID_Z_EN: 0
; COMPUTE_PGM_RSRC2:TIDIG_COMP_CNT: 0
	.section	.text._ZN2at6native12_GLOBAL__N_144conv_depthwise3d_cuda_backward_weight_kernelIN3c108BFloat16EfLi2ELi2EEEvN5torch10headeronly6detail27GenericPackedTensorAccessorINS7_14TensorAccessorINS3_8ArrayRefIlEEKT_Lm4ENS6_16DefaultPtrTraitsEiEENS_6detail16IndexBoundsCheckILm5EiEESD_Lm5ESE_iEESJ_NS8_INS9_ISB_SC_Lm4ESE_iEESI_SC_Lm5ESE_iEEiiiiiiiii,"axG",@progbits,_ZN2at6native12_GLOBAL__N_144conv_depthwise3d_cuda_backward_weight_kernelIN3c108BFloat16EfLi2ELi2EEEvN5torch10headeronly6detail27GenericPackedTensorAccessorINS7_14TensorAccessorINS3_8ArrayRefIlEEKT_Lm4ENS6_16DefaultPtrTraitsEiEENS_6detail16IndexBoundsCheckILm5EiEESD_Lm5ESE_iEESJ_NS8_INS9_ISB_SC_Lm4ESE_iEESI_SC_Lm5ESE_iEEiiiiiiiii,comdat
	.globl	_ZN2at6native12_GLOBAL__N_144conv_depthwise3d_cuda_backward_weight_kernelIN3c108BFloat16EfLi2ELi2EEEvN5torch10headeronly6detail27GenericPackedTensorAccessorINS7_14TensorAccessorINS3_8ArrayRefIlEEKT_Lm4ENS6_16DefaultPtrTraitsEiEENS_6detail16IndexBoundsCheckILm5EiEESD_Lm5ESE_iEESJ_NS8_INS9_ISB_SC_Lm4ESE_iEESI_SC_Lm5ESE_iEEiiiiiiiii ; -- Begin function _ZN2at6native12_GLOBAL__N_144conv_depthwise3d_cuda_backward_weight_kernelIN3c108BFloat16EfLi2ELi2EEEvN5torch10headeronly6detail27GenericPackedTensorAccessorINS7_14TensorAccessorINS3_8ArrayRefIlEEKT_Lm4ENS6_16DefaultPtrTraitsEiEENS_6detail16IndexBoundsCheckILm5EiEESD_Lm5ESE_iEESJ_NS8_INS9_ISB_SC_Lm4ESE_iEESI_SC_Lm5ESE_iEEiiiiiiiii
	.p2align	8
	.type	_ZN2at6native12_GLOBAL__N_144conv_depthwise3d_cuda_backward_weight_kernelIN3c108BFloat16EfLi2ELi2EEEvN5torch10headeronly6detail27GenericPackedTensorAccessorINS7_14TensorAccessorINS3_8ArrayRefIlEEKT_Lm4ENS6_16DefaultPtrTraitsEiEENS_6detail16IndexBoundsCheckILm5EiEESD_Lm5ESE_iEESJ_NS8_INS9_ISB_SC_Lm4ESE_iEESI_SC_Lm5ESE_iEEiiiiiiiii,@function
_ZN2at6native12_GLOBAL__N_144conv_depthwise3d_cuda_backward_weight_kernelIN3c108BFloat16EfLi2ELi2EEEvN5torch10headeronly6detail27GenericPackedTensorAccessorINS7_14TensorAccessorINS3_8ArrayRefIlEEKT_Lm4ENS6_16DefaultPtrTraitsEiEENS_6detail16IndexBoundsCheckILm5EiEESD_Lm5ESE_iEESJ_NS8_INS9_ISB_SC_Lm4ESE_iEESI_SC_Lm5ESE_iEEiiiiiiiii: ; @_ZN2at6native12_GLOBAL__N_144conv_depthwise3d_cuda_backward_weight_kernelIN3c108BFloat16EfLi2ELi2EEEvN5torch10headeronly6detail27GenericPackedTensorAccessorINS7_14TensorAccessorINS3_8ArrayRefIlEEKT_Lm4ENS6_16DefaultPtrTraitsEiEENS_6detail16IndexBoundsCheckILm5EiEESD_Lm5ESE_iEESJ_NS8_INS9_ISB_SC_Lm4ESE_iEESI_SC_Lm5ESE_iEEiiiiiiiii
; %bb.0:
	s_load_dwordx4 s[0:3], s[4:5], 0x70
	s_add_u32 s8, s4, 0x60
	s_addc_u32 s9, s5, 0
	s_waitcnt lgkmcnt(0)
	v_cvt_f32_u32_e32 v1, s2
	v_cvt_f32_u32_e32 v2, s1
	s_sub_i32 s10, 0, s2
	v_rcp_iflag_f32_e32 v1, v1
	v_rcp_iflag_f32_e32 v2, v2
	v_mul_f32_e32 v1, 0x4f7ffffe, v1
	v_mul_f32_e32 v2, 0x4f7ffffe, v2
	v_cvt_u32_f32_e32 v1, v1
	v_cvt_u32_f32_e32 v2, v2
	v_readfirstlane_b32 s7, v1
	v_cvt_f32_u32_e32 v1, s0
	v_readfirstlane_b32 s13, v2
	s_mul_i32 s10, s10, s7
	v_rcp_iflag_f32_e32 v1, v1
	s_mul_hi_u32 s10, s7, s10
	s_add_i32 s7, s7, s10
	s_mul_hi_u32 s7, s6, s7
	s_mul_i32 s10, s7, s2
	s_add_i32 s11, s7, 1
	s_sub_i32 s10, s6, s10
	v_mul_f32_e32 v1, 0x4f7ffffe, v1
	s_sub_i32 s12, s10, s2
	s_cmp_ge_u32 s10, s2
	s_cselect_b32 s7, s11, s7
	s_cselect_b32 s10, s12, s10
	s_add_i32 s11, s7, 1
	s_cmp_ge_u32 s10, s2
	v_cvt_u32_f32_e32 v1, v1
	s_cselect_b32 s20, s11, s7
	s_sub_i32 s7, 0, s1
	s_mul_i32 s7, s7, s13
	v_readfirstlane_b32 s16, v1
	s_mul_hi_u32 s7, s13, s7
	s_add_i32 s13, s13, s7
	s_mul_hi_u32 s7, s20, s13
	s_mul_i32 s10, s7, s1
	s_add_i32 s11, s7, 1
	s_sub_i32 s10, s20, s10
	s_sub_i32 s12, s10, s1
	s_cmp_ge_u32 s10, s1
	s_cselect_b32 s7, s11, s7
	s_cselect_b32 s10, s12, s10
	s_add_i32 s11, s7, 1
	s_cmp_ge_u32 s10, s1
	s_load_dwordx4 s[12:15], s[4:5], 0x3c
	s_cselect_b32 s21, s11, s7
	s_sub_i32 s7, 0, s0
	s_mul_i32 s7, s7, s16
	s_mul_hi_u32 s7, s16, s7
	s_add_i32 s16, s16, s7
	s_mul_hi_u32 s7, s21, s16
	s_mul_i32 s10, s7, s0
	s_add_i32 s11, s7, 1
	s_sub_i32 s10, s21, s10
	s_sub_i32 s16, s10, s0
	s_cmp_ge_u32 s10, s0
	s_cselect_b32 s7, s11, s7
	s_cselect_b32 s10, s16, s10
	s_add_i32 s11, s7, 1
	s_cmp_ge_u32 s10, s0
	s_load_dwordx4 s[16:19], s[4:5], 0xc
	s_cselect_b32 s7, s11, s7
	s_waitcnt lgkmcnt(0)
	s_abs_i32 s10, s12
	v_cvt_f32_u32_e32 v1, s10
	s_sub_i32 s22, 0, s10
	v_rcp_iflag_f32_e32 v1, v1
	v_mul_f32_e32 v1, 0x4f7ffffe, v1
	s_abs_i32 s23, s16
	s_xor_b32 s12, s16, s12
	s_ashr_i32 s12, s12, 31
	v_cvt_u32_f32_e32 v1, v1
	v_readfirstlane_b32 s11, v1
	s_mul_i32 s22, s22, s11
	s_mul_hi_u32 s22, s11, s22
	s_add_i32 s11, s11, s22
	s_mul_hi_u32 s11, s23, s11
	s_mul_i32 s16, s11, s10
	s_add_i32 s22, s11, 1
	s_sub_i32 s16, s23, s16
	s_sub_i32 s23, s16, s10
	s_cmp_ge_u32 s16, s10
	s_cselect_b32 s11, s22, s11
	s_cselect_b32 s16, s23, s16
	s_add_i32 s22, s11, 1
	s_cmp_ge_u32 s16, s10
	s_cselect_b32 s10, s22, s11
	s_xor_b32 s10, s10, s12
	s_sub_i32 s22, s10, s12
	s_load_dword s10, s[4:5], 0x68
	s_abs_i32 s39, s22
	v_cvt_f32_u32_e32 v1, s39
	v_rcp_iflag_f32_e32 v1, v1
	v_mul_f32_e32 v1, 0x4f7ffffe, v1
	s_waitcnt lgkmcnt(0)
	s_cmp_ge_i32 s7, s10
	v_cvt_u32_f32_e32 v1, v1
	v_readfirstlane_b32 s23, v1
	s_cbranch_scc1 .LBB42_32
; %bb.1:
	s_clause 0x1
	s_load_dword s36, s[4:5], 0x38
	s_load_dword s24, s[4:5], 0xc4
	s_clause 0x1
	s_load_dwordx2 s[34:35], s[8:9], 0x0
	s_load_dwordx4 s[8:11], s[8:9], 0x24
	v_lshrrev_b32_e32 v4, 5, v0
	v_mov_b32_e32 v5, 0
	s_mul_i32 s2, s20, s2
	s_mul_i32 s1, s21, s1
	;; [unrolled: 1-line block ×3, first 2 shown]
	s_sub_i32 s6, s6, s2
	s_sub_i32 s12, s20, s1
	;; [unrolled: 1-line block ×3, first 2 shown]
	s_mov_b32 s37, exec_lo
	s_waitcnt lgkmcnt(0)
	s_mul_i32 s36, s36, s17
	s_and_b32 s33, s24, 0xffff
	v_cmpx_gt_i32_e64 s36, v4
	s_cbranch_execz .LBB42_23
; %bb.2:
	s_sub_i32 s0, 0, s39
	s_abs_i32 s25, s7
	s_mul_i32 s0, s0, s23
	s_ashr_i32 s24, s22, 31
	s_mul_hi_u32 s0, s23, s0
	s_ashr_i32 s2, s7, 31
	s_add_i32 s23, s23, s0
	s_xor_b32 s2, s2, s24
	s_mul_hi_u32 s40, s25, s23
	s_clause 0x2
	s_load_dwordx4 s[28:31], s[4:5], 0x9c
	s_load_dwordx2 s[0:1], s[4:5], 0x0
	s_load_dwordx4 s[20:23], s[4:5], 0x1c
	s_waitcnt lgkmcnt(0)
	s_mul_i32 s23, s40, s39
	s_lshr_b32 s38, s33, 5
	s_sub_i32 s23, s25, s23
	s_load_dwordx4 s[24:27], s[4:5], 0x4c
	s_add_i32 s41, s40, 1
	s_sub_i32 s42, s23, s39
	s_cmp_ge_u32 s23, s39
	s_waitcnt lgkmcnt(0)
	s_cselect_b32 s27, s41, s40
	s_load_dwordx2 s[40:41], s[4:5], 0x30
	s_cselect_b32 s23, s42, s23
	s_add_i32 s42, s27, 1
	s_cmp_ge_u32 s23, s39
	s_cselect_b32 s23, s42, s27
	s_load_dwordx2 s[42:43], s[4:5], 0xac
	s_xor_b32 s23, s23, s2
	s_abs_i32 s39, s17
	s_sub_i32 s2, s23, s2
	s_mul_i32 s4, s21, s7
	s_mul_i32 s21, s16, s31
	s_ashr_i32 s5, s4, 31
	s_ashr_i32 s27, s17, 31
	s_lshl_b64 s[44:45], s[4:5], 1
	s_sub_i32 s46, 0, s39
	s_sub_i32 s4, s21, s28
	v_cvt_f32_u32_e32 v1, s39
	s_add_u32 s5, s0, s44
	s_mul_i32 s0, s25, s2
	s_addc_u32 s21, s1, s45
	s_ashr_i32 s1, s0, 31
	v_rcp_iflag_f32_e32 v1, v1
	s_lshl_b64 s[0:1], s[0:1], 1
	s_waitcnt lgkmcnt(0)
	s_add_u32 s23, s40, s0
	s_addc_u32 s25, s41, s1
	s_abs_i32 s1, s19
	v_cvt_f32_u32_e32 v2, s1
	s_sub_i32 s0, 0, s1
	v_mul_f32_e32 v1, 0x4f7ffffe, v1
	v_rcp_iflag_f32_e32 v2, v2
	v_cvt_u32_f32_e32 v1, v1
	v_mul_lo_u32 v3, s46, v1
	v_mul_f32_e32 v2, 0x4f7ffffe, v2
	v_cvt_u32_f32_e32 v2, v2
	v_mul_hi_u32 v3, v1, v3
	v_mul_lo_u32 v5, s0, v2
	v_add_nc_u32_e32 v1, v1, v3
	v_and_b32_e32 v3, 31, v0
	v_mul_hi_u32 v5, v2, v5
	v_mul_hi_u32 v1, v4, v1
	v_add_nc_u32_e32 v2, v2, v5
	v_mul_lo_u32 v5, v1, s39
	v_add_nc_u32_e32 v7, 1, v1
	v_mul_hi_u32 v2, v3, v2
	v_sub_nc_u32_e32 v5, v4, v5
	v_mul_lo_u32 v6, v2, s1
	v_cmp_le_u32_e32 vcc_lo, s39, v5
	v_add_nc_u32_e32 v8, 1, v2
	v_cndmask_b32_e32 v1, v1, v7, vcc_lo
	v_subrev_nc_u32_e32 v7, s39, v5
	v_sub_nc_u32_e32 v6, v3, v6
	v_cndmask_b32_e32 v5, v5, v7, vcc_lo
	v_subrev_nc_u32_e32 v9, s1, v6
	v_cmp_le_u32_e64 s0, s1, v6
	v_add_nc_u32_e32 v7, 1, v1
	v_cmp_le_u32_e32 vcc_lo, s39, v5
	v_mov_b32_e32 v5, 0
	v_cndmask_b32_e64 v2, v2, v8, s0
	v_cndmask_b32_e64 v6, v6, v9, s0
	s_ashr_i32 s0, s19, 31
	v_cndmask_b32_e32 v1, v1, v7, vcc_lo
	v_lshlrev_b32_e32 v9, 1, v3
	v_add_nc_u32_e32 v8, 1, v2
	v_cmp_le_u32_e32 vcc_lo, s1, v6
	s_mul_i32 s1, s12, s42
	v_xor_b32_e32 v1, s27, v1
	s_sub_i32 s29, s1, s29
	v_cndmask_b32_e32 v2, v2, v8, vcc_lo
	v_mov_b32_e32 v8, 0
	v_subrev_nc_u32_e32 v6, s27, v1
	s_mov_b32 s27, 0
	v_xor_b32_e32 v2, s0, v2
	v_mul_lo_u32 v1, v6, s17
	v_subrev_nc_u32_e32 v7, s0, v2
	s_mul_i32 s0, s6, s43
	s_sub_i32 s28, s0, s30
	v_mul_lo_u32 v2, v7, s19
	v_sub_nc_u32_e32 v10, v4, v1
	v_cmp_gt_i32_e32 vcc_lo, s18, v7
	v_sub_nc_u32_e32 v11, v3, v2
	s_branch .LBB42_6
.LBB42_3:                               ;   in Loop: Header=BB42_6 Depth=1
	s_or_b32 exec_lo, exec_lo, s39
.LBB42_4:                               ;   in Loop: Header=BB42_6 Depth=1
	s_or_b32 exec_lo, exec_lo, s31
.LBB42_5:                               ;   in Loop: Header=BB42_6 Depth=1
	s_or_b32 exec_lo, exec_lo, s30
	v_add_nc_u32_e32 v4, s38, v4
	v_add_nc_u32_e32 v10, s38, v10
	v_cmp_le_i32_e64 s0, s36, v4
	s_or_b32 s27, s0, s27
	s_andn2_b32 exec_lo, exec_lo, s27
	s_cbranch_execz .LBB42_22
.LBB42_6:                               ; =>This Loop Header: Depth=1
                                        ;     Child Loop BB42_8 Depth 2
                                        ;     Child Loop BB42_14 Depth 2
                                        ;       Child Loop BB42_20 Depth 3
	s_mov_b32 s1, exec_lo
	v_cmpx_le_i32_e64 s17, v10
	s_cbranch_execz .LBB42_10
; %bb.7:                                ;   in Loop: Header=BB42_6 Depth=1
	s_mov_b32 s2, 0
.LBB42_8:                               ;   Parent Loop BB42_6 Depth=1
                                        ; =>  This Inner Loop Header: Depth=2
	v_subrev_nc_u32_e32 v10, s17, v10
	v_add_nc_u32_e32 v6, 1, v6
	v_cmp_gt_i32_e64 s0, s17, v10
	s_or_b32 s2, s0, s2
	s_andn2_b32 exec_lo, exec_lo, s2
	s_cbranch_execnz .LBB42_8
; %bb.9:                                ;   in Loop: Header=BB42_6 Depth=1
	s_or_b32 exec_lo, exec_lo, s2
.LBB42_10:                              ;   in Loop: Header=BB42_6 Depth=1
	s_or_b32 exec_lo, exec_lo, s1
	v_mad_u64_u32 v[1:2], null, v10, s11, s[4:5]
	v_cmp_lt_i32_e64 s0, -1, v1
	v_cmp_gt_i32_e64 s1, s13, v1
	s_and_b32 s0, s0, s1
	s_and_saveexec_b32 s30, s0
	s_cbranch_execz .LBB42_5
; %bb.11:                               ;   in Loop: Header=BB42_6 Depth=1
	s_and_saveexec_b32 s31, vcc_lo
	s_cbranch_execz .LBB42_4
; %bb.12:                               ;   in Loop: Header=BB42_6 Depth=1
	v_mul_lo_u32 v2, s20, v6
	v_mul_lo_u32 v12, s24, v6
	;; [unrolled: 1-line block ×4, first 2 shown]
	s_mov_b32 s39, 0
	v_ashrrev_i32_e32 v3, 31, v2
	v_ashrrev_i32_e32 v13, 31, v12
	;; [unrolled: 1-line block ×4, first 2 shown]
	v_lshlrev_b64 v[1:2], 1, v[2:3]
	v_lshlrev_b64 v[12:13], 1, v[12:13]
	;; [unrolled: 1-line block ×4, first 2 shown]
	v_add_co_u32 v1, s0, s5, v1
	v_add_co_ci_u32_e64 v2, null, s21, v2, s0
	v_add_co_u32 v3, s0, s23, v12
	v_add_co_ci_u32_e64 v13, null, s25, v13, s0
	;; [unrolled: 2-line block ×5, first 2 shown]
	v_mov_b32_e32 v14, v11
	v_mov_b32_e32 v15, v7
	s_branch .LBB42_14
.LBB42_13:                              ;   in Loop: Header=BB42_14 Depth=2
	s_or_b32 exec_lo, exec_lo, s1
	s_waitcnt vmcnt(0)
	v_lshlrev_b32_e32 v3, 16, v16
	v_cmp_le_i32_e64 s0, s18, v15
	v_add_co_u32 v1, s1, v1, 64
	v_add_co_ci_u32_e64 v2, null, 0, v2, s1
	v_fmac_f32_e32 v5, v17, v3
	s_or_b32 s39, s0, s39
	s_andn2_b32 exec_lo, exec_lo, s39
	s_cbranch_execz .LBB42_3
.LBB42_14:                              ;   Parent Loop BB42_6 Depth=1
                                        ; =>  This Loop Header: Depth=2
                                        ;       Child Loop BB42_20 Depth 3
	global_load_ushort v16, v[1:2], off
	v_lshl_add_u32 v3, v14, 1, s28
	v_mov_b32_e32 v17, 0
	s_mov_b32 s40, exec_lo
	v_cmpx_lt_i32_e32 -1, v3
	s_cbranch_execz .LBB42_18
; %bb.15:                               ;   in Loop: Header=BB42_14 Depth=2
	v_lshl_add_u32 v18, v15, 1, s29
	v_cmp_gt_i32_e64 s0, s15, v3
	v_mov_b32_e32 v17, 0
	v_cmp_gt_i32_e64 s1, s14, v18
	v_cmp_lt_i32_e64 s2, -1, v18
	s_and_b32 s0, s0, s1
	s_and_b32 s0, s0, s2
	s_and_saveexec_b32 s1, s0
	s_cbranch_execz .LBB42_17
; %bb.16:                               ;   in Loop: Header=BB42_14 Depth=2
	v_mad_u64_u32 v[17:18], null, v18, s15, v[3:4]
	v_mov_b32_e32 v18, v8
	v_lshlrev_b64 v[17:18], 1, v[17:18]
	v_add_co_u32 v17, s0, v12, v17
	v_add_co_ci_u32_e64 v18, null, v13, v18, s0
	global_load_ushort v3, v[17:18], off
	s_waitcnt vmcnt(0)
	v_lshlrev_b32_e32 v17, 16, v3
.LBB42_17:                              ;   in Loop: Header=BB42_14 Depth=2
	s_or_b32 exec_lo, exec_lo, s1
.LBB42_18:                              ;   in Loop: Header=BB42_14 Depth=2
	s_or_b32 exec_lo, exec_lo, s40
	v_add_nc_u32_e32 v14, 32, v14
	s_mov_b32 s1, exec_lo
	v_cmpx_le_i32_e64 s19, v14
	s_cbranch_execz .LBB42_13
; %bb.19:                               ;   in Loop: Header=BB42_14 Depth=2
	s_mov_b32 s2, 0
.LBB42_20:                              ;   Parent Loop BB42_6 Depth=1
                                        ;     Parent Loop BB42_14 Depth=2
                                        ; =>    This Inner Loop Header: Depth=3
	v_subrev_nc_u32_e32 v14, s19, v14
	v_add_nc_u32_e32 v15, 1, v15
	v_cmp_gt_i32_e64 s0, s19, v14
	s_or_b32 s2, s0, s2
	s_andn2_b32 exec_lo, exec_lo, s2
	s_cbranch_execnz .LBB42_20
; %bb.21:                               ;   in Loop: Header=BB42_14 Depth=2
	s_or_b32 exec_lo, exec_lo, s2
	s_branch .LBB42_13
.LBB42_22:
	s_or_b32 exec_lo, exec_lo, s27
.LBB42_23:
	s_or_b32 exec_lo, exec_lo, s37
	v_bfe_u32 v1, v5, 16, 1
	v_cmp_o_f32_e32 vcc_lo, v5, v5
	v_mov_b32_e32 v2, 0x7fc0
	s_bcnt1_i32_b32 s1, s33
	s_mov_b32 s0, -1
	v_add3_u32 v3, v5, v1, 0x7fff
	v_lshl_add_u32 v1, v0, 1, 0
	s_cmp_lg_u32 s1, 1
	v_cndmask_b32_sdwa v2, v2, v3, vcc_lo dst_sel:DWORD dst_unused:UNUSED_PAD src0_sel:DWORD src1_sel:WORD_1
	ds_write_b16 v1, v2
	s_waitcnt lgkmcnt(0)
	s_barrier
	buffer_gl0_inv
	s_cbranch_scc1 .LBB42_33
; %bb.24:
	s_andn2_b32 vcc_lo, exec_lo, s0
	s_cbranch_vccnz .LBB42_32
.LBB42_25:
	s_cmp_lt_u32 s33, 2
	s_cbranch_scc1 .LBB42_30
; %bb.26:
	v_mov_b32_e32 v2, 0x7fc0
	s_inst_prefetch 0x1
	s_branch .LBB42_28
	.p2align	6
.LBB42_27:                              ;   in Loop: Header=BB42_28 Depth=1
	s_or_b32 exec_lo, exec_lo, s1
	s_cmp_lt_u32 s33, 4
	s_mov_b32 s33, s0
	s_waitcnt lgkmcnt(0)
	s_barrier
	buffer_gl0_inv
	s_cbranch_scc1 .LBB42_30
.LBB42_28:                              ; =>This Inner Loop Header: Depth=1
	s_lshr_b32 s0, s33, 1
	s_mov_b32 s1, exec_lo
	v_cmpx_gt_u32_e64 s0, v0
	s_cbranch_execz .LBB42_27
; %bb.29:                               ;   in Loop: Header=BB42_28 Depth=1
	v_lshl_add_u32 v3, s0, 1, v1
	ds_read_u16 v3, v3
	ds_read_u16 v4, v1
	s_waitcnt lgkmcnt(1)
	v_lshlrev_b32_e32 v3, 16, v3
	s_waitcnt lgkmcnt(0)
	v_lshlrev_b32_e32 v4, 16, v4
	v_add_f32_e32 v3, v3, v4
	v_bfe_u32 v4, v3, 16, 1
	v_cmp_o_f32_e32 vcc_lo, v3, v3
	v_add3_u32 v3, v3, v4, 0x7fff
	v_cndmask_b32_sdwa v3, v2, v3, vcc_lo dst_sel:DWORD dst_unused:UNUSED_PAD src0_sel:DWORD src1_sel:WORD_1
	ds_write_b16 v1, v3
	s_branch .LBB42_27
.LBB42_30:
	s_inst_prefetch 0x2
	s_mov_b32 s0, exec_lo
	v_cmpx_eq_u32_e32 0, v0
	s_cbranch_execz .LBB42_32
; %bb.31:
	s_mul_i32 s0, s3, s7
	v_mov_b32_e32 v0, 0
	s_ashr_i32 s1, s0, 31
	s_mul_i32 s2, s8, s16
	s_lshl_b64 s[0:1], s[0:1], 1
	ds_read_u16 v1, v0
	s_add_u32 s4, s34, s0
	s_addc_u32 s5, s35, s1
	s_ashr_i32 s3, s2, 31
	s_lshl_b64 s[0:1], s[2:3], 1
	s_mul_i32 s2, s9, s12
	s_add_u32 s4, s4, s0
	s_addc_u32 s5, s5, s1
	s_ashr_i32 s3, s2, 31
	s_lshl_b64 s[0:1], s[2:3], 1
	s_add_u32 s2, s4, s0
	s_mul_i32 s0, s10, s6
	s_addc_u32 s3, s5, s1
	s_ashr_i32 s1, s0, 31
	s_lshl_b64 s[0:1], s[0:1], 1
	s_add_u32 s0, s2, s0
	s_addc_u32 s1, s3, s1
	s_waitcnt lgkmcnt(0)
	global_store_short v0, v1, s[0:1]
.LBB42_32:
	s_endpgm
.LBB42_33:
	s_trap 2
	; divergent unreachable
	s_cbranch_execz .LBB42_25
	s_branch .LBB42_32
	.section	.rodata,"a",@progbits
	.p2align	6, 0x0
	.amdhsa_kernel _ZN2at6native12_GLOBAL__N_144conv_depthwise3d_cuda_backward_weight_kernelIN3c108BFloat16EfLi2ELi2EEEvN5torch10headeronly6detail27GenericPackedTensorAccessorINS7_14TensorAccessorINS3_8ArrayRefIlEEKT_Lm4ENS6_16DefaultPtrTraitsEiEENS_6detail16IndexBoundsCheckILm5EiEESD_Lm5ESE_iEESJ_NS8_INS9_ISB_SC_Lm4ESE_iEESI_SC_Lm5ESE_iEEiiiiiiiii
		.amdhsa_group_segment_fixed_size 0
		.amdhsa_private_segment_fixed_size 0
		.amdhsa_kernarg_size 440
		.amdhsa_user_sgpr_count 6
		.amdhsa_user_sgpr_private_segment_buffer 1
		.amdhsa_user_sgpr_dispatch_ptr 0
		.amdhsa_user_sgpr_queue_ptr 0
		.amdhsa_user_sgpr_kernarg_segment_ptr 1
		.amdhsa_user_sgpr_dispatch_id 0
		.amdhsa_user_sgpr_flat_scratch_init 0
		.amdhsa_user_sgpr_private_segment_size 0
		.amdhsa_wavefront_size32 1
		.amdhsa_uses_dynamic_stack 0
		.amdhsa_system_sgpr_private_segment_wavefront_offset 0
		.amdhsa_system_sgpr_workgroup_id_x 1
		.amdhsa_system_sgpr_workgroup_id_y 0
		.amdhsa_system_sgpr_workgroup_id_z 0
		.amdhsa_system_sgpr_workgroup_info 0
		.amdhsa_system_vgpr_workitem_id 0
		.amdhsa_next_free_vgpr 19
		.amdhsa_next_free_sgpr 47
		.amdhsa_reserve_vcc 1
		.amdhsa_reserve_flat_scratch 0
		.amdhsa_float_round_mode_32 0
		.amdhsa_float_round_mode_16_64 0
		.amdhsa_float_denorm_mode_32 3
		.amdhsa_float_denorm_mode_16_64 3
		.amdhsa_dx10_clamp 1
		.amdhsa_ieee_mode 1
		.amdhsa_fp16_overflow 0
		.amdhsa_workgroup_processor_mode 1
		.amdhsa_memory_ordered 1
		.amdhsa_forward_progress 1
		.amdhsa_shared_vgpr_count 0
		.amdhsa_exception_fp_ieee_invalid_op 0
		.amdhsa_exception_fp_denorm_src 0
		.amdhsa_exception_fp_ieee_div_zero 0
		.amdhsa_exception_fp_ieee_overflow 0
		.amdhsa_exception_fp_ieee_underflow 0
		.amdhsa_exception_fp_ieee_inexact 0
		.amdhsa_exception_int_div_zero 0
	.end_amdhsa_kernel
	.section	.text._ZN2at6native12_GLOBAL__N_144conv_depthwise3d_cuda_backward_weight_kernelIN3c108BFloat16EfLi2ELi2EEEvN5torch10headeronly6detail27GenericPackedTensorAccessorINS7_14TensorAccessorINS3_8ArrayRefIlEEKT_Lm4ENS6_16DefaultPtrTraitsEiEENS_6detail16IndexBoundsCheckILm5EiEESD_Lm5ESE_iEESJ_NS8_INS9_ISB_SC_Lm4ESE_iEESI_SC_Lm5ESE_iEEiiiiiiiii,"axG",@progbits,_ZN2at6native12_GLOBAL__N_144conv_depthwise3d_cuda_backward_weight_kernelIN3c108BFloat16EfLi2ELi2EEEvN5torch10headeronly6detail27GenericPackedTensorAccessorINS7_14TensorAccessorINS3_8ArrayRefIlEEKT_Lm4ENS6_16DefaultPtrTraitsEiEENS_6detail16IndexBoundsCheckILm5EiEESD_Lm5ESE_iEESJ_NS8_INS9_ISB_SC_Lm4ESE_iEESI_SC_Lm5ESE_iEEiiiiiiiii,comdat
.Lfunc_end42:
	.size	_ZN2at6native12_GLOBAL__N_144conv_depthwise3d_cuda_backward_weight_kernelIN3c108BFloat16EfLi2ELi2EEEvN5torch10headeronly6detail27GenericPackedTensorAccessorINS7_14TensorAccessorINS3_8ArrayRefIlEEKT_Lm4ENS6_16DefaultPtrTraitsEiEENS_6detail16IndexBoundsCheckILm5EiEESD_Lm5ESE_iEESJ_NS8_INS9_ISB_SC_Lm4ESE_iEESI_SC_Lm5ESE_iEEiiiiiiiii, .Lfunc_end42-_ZN2at6native12_GLOBAL__N_144conv_depthwise3d_cuda_backward_weight_kernelIN3c108BFloat16EfLi2ELi2EEEvN5torch10headeronly6detail27GenericPackedTensorAccessorINS7_14TensorAccessorINS3_8ArrayRefIlEEKT_Lm4ENS6_16DefaultPtrTraitsEiEENS_6detail16IndexBoundsCheckILm5EiEESD_Lm5ESE_iEESJ_NS8_INS9_ISB_SC_Lm4ESE_iEESI_SC_Lm5ESE_iEEiiiiiiiii
                                        ; -- End function
	.set _ZN2at6native12_GLOBAL__N_144conv_depthwise3d_cuda_backward_weight_kernelIN3c108BFloat16EfLi2ELi2EEEvN5torch10headeronly6detail27GenericPackedTensorAccessorINS7_14TensorAccessorINS3_8ArrayRefIlEEKT_Lm4ENS6_16DefaultPtrTraitsEiEENS_6detail16IndexBoundsCheckILm5EiEESD_Lm5ESE_iEESJ_NS8_INS9_ISB_SC_Lm4ESE_iEESI_SC_Lm5ESE_iEEiiiiiiiii.num_vgpr, 19
	.set _ZN2at6native12_GLOBAL__N_144conv_depthwise3d_cuda_backward_weight_kernelIN3c108BFloat16EfLi2ELi2EEEvN5torch10headeronly6detail27GenericPackedTensorAccessorINS7_14TensorAccessorINS3_8ArrayRefIlEEKT_Lm4ENS6_16DefaultPtrTraitsEiEENS_6detail16IndexBoundsCheckILm5EiEESD_Lm5ESE_iEESJ_NS8_INS9_ISB_SC_Lm4ESE_iEESI_SC_Lm5ESE_iEEiiiiiiiii.num_agpr, 0
	.set _ZN2at6native12_GLOBAL__N_144conv_depthwise3d_cuda_backward_weight_kernelIN3c108BFloat16EfLi2ELi2EEEvN5torch10headeronly6detail27GenericPackedTensorAccessorINS7_14TensorAccessorINS3_8ArrayRefIlEEKT_Lm4ENS6_16DefaultPtrTraitsEiEENS_6detail16IndexBoundsCheckILm5EiEESD_Lm5ESE_iEESJ_NS8_INS9_ISB_SC_Lm4ESE_iEESI_SC_Lm5ESE_iEEiiiiiiiii.numbered_sgpr, 47
	.set _ZN2at6native12_GLOBAL__N_144conv_depthwise3d_cuda_backward_weight_kernelIN3c108BFloat16EfLi2ELi2EEEvN5torch10headeronly6detail27GenericPackedTensorAccessorINS7_14TensorAccessorINS3_8ArrayRefIlEEKT_Lm4ENS6_16DefaultPtrTraitsEiEENS_6detail16IndexBoundsCheckILm5EiEESD_Lm5ESE_iEESJ_NS8_INS9_ISB_SC_Lm4ESE_iEESI_SC_Lm5ESE_iEEiiiiiiiii.num_named_barrier, 0
	.set _ZN2at6native12_GLOBAL__N_144conv_depthwise3d_cuda_backward_weight_kernelIN3c108BFloat16EfLi2ELi2EEEvN5torch10headeronly6detail27GenericPackedTensorAccessorINS7_14TensorAccessorINS3_8ArrayRefIlEEKT_Lm4ENS6_16DefaultPtrTraitsEiEENS_6detail16IndexBoundsCheckILm5EiEESD_Lm5ESE_iEESJ_NS8_INS9_ISB_SC_Lm4ESE_iEESI_SC_Lm5ESE_iEEiiiiiiiii.private_seg_size, 0
	.set _ZN2at6native12_GLOBAL__N_144conv_depthwise3d_cuda_backward_weight_kernelIN3c108BFloat16EfLi2ELi2EEEvN5torch10headeronly6detail27GenericPackedTensorAccessorINS7_14TensorAccessorINS3_8ArrayRefIlEEKT_Lm4ENS6_16DefaultPtrTraitsEiEENS_6detail16IndexBoundsCheckILm5EiEESD_Lm5ESE_iEESJ_NS8_INS9_ISB_SC_Lm4ESE_iEESI_SC_Lm5ESE_iEEiiiiiiiii.uses_vcc, 1
	.set _ZN2at6native12_GLOBAL__N_144conv_depthwise3d_cuda_backward_weight_kernelIN3c108BFloat16EfLi2ELi2EEEvN5torch10headeronly6detail27GenericPackedTensorAccessorINS7_14TensorAccessorINS3_8ArrayRefIlEEKT_Lm4ENS6_16DefaultPtrTraitsEiEENS_6detail16IndexBoundsCheckILm5EiEESD_Lm5ESE_iEESJ_NS8_INS9_ISB_SC_Lm4ESE_iEESI_SC_Lm5ESE_iEEiiiiiiiii.uses_flat_scratch, 0
	.set _ZN2at6native12_GLOBAL__N_144conv_depthwise3d_cuda_backward_weight_kernelIN3c108BFloat16EfLi2ELi2EEEvN5torch10headeronly6detail27GenericPackedTensorAccessorINS7_14TensorAccessorINS3_8ArrayRefIlEEKT_Lm4ENS6_16DefaultPtrTraitsEiEENS_6detail16IndexBoundsCheckILm5EiEESD_Lm5ESE_iEESJ_NS8_INS9_ISB_SC_Lm4ESE_iEESI_SC_Lm5ESE_iEEiiiiiiiii.has_dyn_sized_stack, 0
	.set _ZN2at6native12_GLOBAL__N_144conv_depthwise3d_cuda_backward_weight_kernelIN3c108BFloat16EfLi2ELi2EEEvN5torch10headeronly6detail27GenericPackedTensorAccessorINS7_14TensorAccessorINS3_8ArrayRefIlEEKT_Lm4ENS6_16DefaultPtrTraitsEiEENS_6detail16IndexBoundsCheckILm5EiEESD_Lm5ESE_iEESJ_NS8_INS9_ISB_SC_Lm4ESE_iEESI_SC_Lm5ESE_iEEiiiiiiiii.has_recursion, 0
	.set _ZN2at6native12_GLOBAL__N_144conv_depthwise3d_cuda_backward_weight_kernelIN3c108BFloat16EfLi2ELi2EEEvN5torch10headeronly6detail27GenericPackedTensorAccessorINS7_14TensorAccessorINS3_8ArrayRefIlEEKT_Lm4ENS6_16DefaultPtrTraitsEiEENS_6detail16IndexBoundsCheckILm5EiEESD_Lm5ESE_iEESJ_NS8_INS9_ISB_SC_Lm4ESE_iEESI_SC_Lm5ESE_iEEiiiiiiiii.has_indirect_call, 0
	.section	.AMDGPU.csdata,"",@progbits
; Kernel info:
; codeLenInByte = 2068
; TotalNumSgprs: 49
; NumVgprs: 19
; ScratchSize: 0
; MemoryBound: 0
; FloatMode: 240
; IeeeMode: 1
; LDSByteSize: 0 bytes/workgroup (compile time only)
; SGPRBlocks: 0
; VGPRBlocks: 2
; NumSGPRsForWavesPerEU: 49
; NumVGPRsForWavesPerEU: 19
; Occupancy: 16
; WaveLimiterHint : 1
; COMPUTE_PGM_RSRC2:SCRATCH_EN: 0
; COMPUTE_PGM_RSRC2:USER_SGPR: 6
; COMPUTE_PGM_RSRC2:TRAP_HANDLER: 0
; COMPUTE_PGM_RSRC2:TGID_X_EN: 1
; COMPUTE_PGM_RSRC2:TGID_Y_EN: 0
; COMPUTE_PGM_RSRC2:TGID_Z_EN: 0
; COMPUTE_PGM_RSRC2:TIDIG_COMP_CNT: 0
	.section	.text._ZN2at6native12_GLOBAL__N_144conv_depthwise3d_cuda_backward_weight_kernelIN3c108BFloat16EfLin1ELin1EEEvN5torch10headeronly6detail27GenericPackedTensorAccessorINS7_14TensorAccessorINS3_8ArrayRefIlEEKT_Lm4ENS6_16DefaultPtrTraitsEiEENS_6detail16IndexBoundsCheckILm5EiEESD_Lm5ESE_iEESJ_NS8_INS9_ISB_SC_Lm4ESE_iEESI_SC_Lm5ESE_iEEiiiiiiiii,"axG",@progbits,_ZN2at6native12_GLOBAL__N_144conv_depthwise3d_cuda_backward_weight_kernelIN3c108BFloat16EfLin1ELin1EEEvN5torch10headeronly6detail27GenericPackedTensorAccessorINS7_14TensorAccessorINS3_8ArrayRefIlEEKT_Lm4ENS6_16DefaultPtrTraitsEiEENS_6detail16IndexBoundsCheckILm5EiEESD_Lm5ESE_iEESJ_NS8_INS9_ISB_SC_Lm4ESE_iEESI_SC_Lm5ESE_iEEiiiiiiiii,comdat
	.globl	_ZN2at6native12_GLOBAL__N_144conv_depthwise3d_cuda_backward_weight_kernelIN3c108BFloat16EfLin1ELin1EEEvN5torch10headeronly6detail27GenericPackedTensorAccessorINS7_14TensorAccessorINS3_8ArrayRefIlEEKT_Lm4ENS6_16DefaultPtrTraitsEiEENS_6detail16IndexBoundsCheckILm5EiEESD_Lm5ESE_iEESJ_NS8_INS9_ISB_SC_Lm4ESE_iEESI_SC_Lm5ESE_iEEiiiiiiiii ; -- Begin function _ZN2at6native12_GLOBAL__N_144conv_depthwise3d_cuda_backward_weight_kernelIN3c108BFloat16EfLin1ELin1EEEvN5torch10headeronly6detail27GenericPackedTensorAccessorINS7_14TensorAccessorINS3_8ArrayRefIlEEKT_Lm4ENS6_16DefaultPtrTraitsEiEENS_6detail16IndexBoundsCheckILm5EiEESD_Lm5ESE_iEESJ_NS8_INS9_ISB_SC_Lm4ESE_iEESI_SC_Lm5ESE_iEEiiiiiiiii
	.p2align	8
	.type	_ZN2at6native12_GLOBAL__N_144conv_depthwise3d_cuda_backward_weight_kernelIN3c108BFloat16EfLin1ELin1EEEvN5torch10headeronly6detail27GenericPackedTensorAccessorINS7_14TensorAccessorINS3_8ArrayRefIlEEKT_Lm4ENS6_16DefaultPtrTraitsEiEENS_6detail16IndexBoundsCheckILm5EiEESD_Lm5ESE_iEESJ_NS8_INS9_ISB_SC_Lm4ESE_iEESI_SC_Lm5ESE_iEEiiiiiiiii,@function
_ZN2at6native12_GLOBAL__N_144conv_depthwise3d_cuda_backward_weight_kernelIN3c108BFloat16EfLin1ELin1EEEvN5torch10headeronly6detail27GenericPackedTensorAccessorINS7_14TensorAccessorINS3_8ArrayRefIlEEKT_Lm4ENS6_16DefaultPtrTraitsEiEENS_6detail16IndexBoundsCheckILm5EiEESD_Lm5ESE_iEESJ_NS8_INS9_ISB_SC_Lm4ESE_iEESI_SC_Lm5ESE_iEEiiiiiiiii: ; @_ZN2at6native12_GLOBAL__N_144conv_depthwise3d_cuda_backward_weight_kernelIN3c108BFloat16EfLin1ELin1EEEvN5torch10headeronly6detail27GenericPackedTensorAccessorINS7_14TensorAccessorINS3_8ArrayRefIlEEKT_Lm4ENS6_16DefaultPtrTraitsEiEENS_6detail16IndexBoundsCheckILm5EiEESD_Lm5ESE_iEESJ_NS8_INS9_ISB_SC_Lm4ESE_iEESI_SC_Lm5ESE_iEEiiiiiiiii
; %bb.0:
	s_load_dwordx4 s[0:3], s[4:5], 0x70
	s_add_u32 s8, s4, 0x60
	s_addc_u32 s9, s5, 0
	s_clause 0x1
	s_load_dwordx4 s[16:19], s[4:5], 0x3c
	s_load_dwordx4 s[20:23], s[4:5], 0xc
	s_waitcnt lgkmcnt(0)
	v_cvt_f32_u32_e32 v1, s2
	v_cvt_f32_u32_e32 v2, s1
	s_sub_i32 s10, 0, s2
	v_rcp_iflag_f32_e32 v1, v1
	v_rcp_iflag_f32_e32 v2, v2
	v_mul_f32_e32 v1, 0x4f7ffffe, v1
	v_mul_f32_e32 v2, 0x4f7ffffe, v2
	v_cvt_u32_f32_e32 v1, v1
	v_cvt_u32_f32_e32 v2, v2
	v_readfirstlane_b32 s7, v1
	v_cvt_f32_u32_e32 v1, s0
	v_readfirstlane_b32 s13, v2
	s_mul_i32 s10, s10, s7
	v_rcp_iflag_f32_e32 v1, v1
	s_mul_hi_u32 s10, s7, s10
	s_add_i32 s7, s7, s10
	s_mul_hi_u32 s7, s6, s7
	s_mul_i32 s10, s7, s2
	s_add_i32 s11, s7, 1
	s_sub_i32 s10, s6, s10
	v_mul_f32_e32 v1, 0x4f7ffffe, v1
	s_sub_i32 s12, s10, s2
	s_cmp_ge_u32 s10, s2
	s_cselect_b32 s7, s11, s7
	s_cselect_b32 s10, s12, s10
	s_add_i32 s11, s7, 1
	s_cmp_ge_u32 s10, s2
	v_cvt_u32_f32_e32 v1, v1
	s_cselect_b32 s24, s11, s7
	s_sub_i32 s7, 0, s1
	s_mul_i32 s7, s7, s13
	s_mul_hi_u32 s7, s13, s7
	s_add_i32 s13, s13, s7
	s_mul_hi_u32 s7, s24, s13
	v_readfirstlane_b32 s13, v1
	s_mul_i32 s10, s7, s1
	s_add_i32 s11, s7, 1
	s_sub_i32 s10, s24, s10
	s_sub_i32 s12, s10, s1
	s_cmp_ge_u32 s10, s1
	s_cselect_b32 s7, s11, s7
	s_cselect_b32 s10, s12, s10
	s_add_i32 s11, s7, 1
	s_cmp_ge_u32 s10, s1
	s_cselect_b32 s25, s11, s7
	s_sub_i32 s7, 0, s0
	s_mul_i32 s7, s7, s13
	s_mul_hi_u32 s7, s13, s7
	s_add_i32 s13, s13, s7
	s_mul_hi_u32 s7, s25, s13
	s_mul_i32 s10, s7, s0
	s_add_i32 s11, s7, 1
	s_sub_i32 s10, s25, s10
	s_sub_i32 s12, s10, s0
	s_cmp_ge_u32 s10, s0
	s_cselect_b32 s7, s11, s7
	s_cselect_b32 s10, s12, s10
	s_add_i32 s11, s7, 1
	s_cmp_ge_u32 s10, s0
	s_cselect_b32 s7, s11, s7
	s_abs_i32 s10, s16
	s_abs_i32 s13, s20
	v_cvt_f32_u32_e32 v1, s10
	s_sub_i32 s12, 0, s10
	v_rcp_iflag_f32_e32 v1, v1
	v_mul_f32_e32 v1, 0x4f7ffffe, v1
	v_cvt_u32_f32_e32 v1, v1
	v_readfirstlane_b32 s11, v1
	s_mul_i32 s12, s12, s11
	s_mul_hi_u32 s12, s11, s12
	s_add_i32 s11, s11, s12
	s_xor_b32 s12, s20, s16
	s_mul_hi_u32 s11, s13, s11
	s_ashr_i32 s12, s12, 31
	s_mul_i32 s14, s11, s10
	s_sub_i32 s13, s13, s14
	s_add_i32 s14, s11, 1
	s_sub_i32 s15, s13, s10
	s_cmp_ge_u32 s13, s10
	s_cselect_b32 s11, s14, s11
	s_cselect_b32 s13, s15, s13
	s_add_i32 s14, s11, 1
	s_cmp_ge_u32 s13, s10
	s_cselect_b32 s10, s14, s11
	s_xor_b32 s10, s10, s12
	s_sub_i32 s26, s10, s12
	s_load_dword s10, s[4:5], 0x68
	s_abs_i32 s44, s26
	v_cvt_f32_u32_e32 v1, s44
	v_rcp_iflag_f32_e32 v1, v1
	v_mul_f32_e32 v1, 0x4f7ffffe, v1
	s_waitcnt lgkmcnt(0)
	s_cmp_ge_i32 s7, s10
	v_cvt_u32_f32_e32 v1, v1
	v_readfirstlane_b32 s27, v1
	s_cbranch_scc1 .LBB43_32
; %bb.1:
	s_clause 0x1
	s_load_dword s41, s[4:5], 0x38
	s_load_dwordx4 s[36:39], s[8:9], 0x44
	s_load_dword s28, s[4:5], 0xc4
	s_clause 0x1
	s_load_dwordx2 s[34:35], s[8:9], 0x0
	s_load_dwordx8 s[8:15], s[8:9], 0x24
	v_lshrrev_b32_e32 v6, 5, v0
	v_mov_b32_e32 v7, 0
	s_mul_i32 s2, s24, s2
	s_mul_i32 s1, s25, s1
	;; [unrolled: 1-line block ×3, first 2 shown]
	s_sub_i32 s16, s6, s2
	s_sub_i32 s20, s24, s1
	s_sub_i32 s33, s25, s0
	s_mov_b32 s42, exec_lo
	s_waitcnt lgkmcnt(0)
	s_mul_i32 s41, s41, s21
	s_and_b32 s40, s28, 0xffff
	v_cmpx_gt_i32_e64 s41, v6
	s_cbranch_execz .LBB43_23
; %bb.2:
	s_sub_i32 s0, 0, s44
	s_abs_i32 s28, s7
	s_mul_i32 s0, s0, s27
	s_ashr_i32 s6, s26, 31
	s_mul_hi_u32 s0, s27, s0
	s_ashr_i32 s2, s7, 31
	s_add_i32 s27, s27, s0
	s_xor_b32 s2, s2, s6
	s_mul_hi_u32 s45, s28, s27
	s_clause 0x1
	s_load_dwordx2 s[0:1], s[4:5], 0x0
	s_load_dwordx4 s[24:27], s[4:5], 0x1c
	s_waitcnt lgkmcnt(0)
	s_mul_i32 s27, s45, s44
	s_lshr_b32 s43, s40, 5
	s_sub_i32 s6, s28, s27
	s_add_i32 s27, s45, 1
	s_sub_i32 s46, s6, s44
	s_load_dwordx4 s[28:31], s[4:5], 0x4c
	s_cmp_ge_u32 s6, s44
	v_mov_b32_e32 v10, 0
	s_cselect_b32 s27, s27, s45
	s_cselect_b32 s6, s46, s6
	s_waitcnt lgkmcnt(0)
	s_add_i32 s31, s27, 1
	s_cmp_ge_u32 s6, s44
	s_load_dwordx2 s[44:45], s[4:5], 0x30
	s_cselect_b32 s4, s31, s27
	s_abs_i32 s31, s21
	s_xor_b32 s4, s4, s2
	s_ashr_i32 s6, s21, 31
	s_sub_i32 s2, s4, s2
	s_sub_i32 s48, 0, s31
	s_mul_i32 s4, s25, s7
	s_mul_i32 s25, s33, s37
	s_ashr_i32 s5, s4, 31
	v_cvt_f32_u32_e32 v1, s31
	s_lshl_b64 s[46:47], s[4:5], 1
	s_sub_i32 s4, s25, s14
	s_add_u32 s5, s0, s46
	s_mul_i32 s0, s29, s2
	s_addc_u32 s25, s1, s47
	s_ashr_i32 s1, s0, 31
	v_rcp_iflag_f32_e32 v1, v1
	s_lshl_b64 s[0:1], s[0:1], 1
	s_waitcnt lgkmcnt(0)
	s_add_u32 s27, s44, s0
	s_addc_u32 s29, s45, s1
	s_abs_i32 s1, s23
	v_cvt_f32_u32_e32 v2, s1
	s_sub_i32 s0, 0, s1
	v_mul_f32_e32 v1, 0x4f7ffffe, v1
	v_rcp_iflag_f32_e32 v2, v2
	v_cvt_u32_f32_e32 v1, v1
	v_mul_lo_u32 v3, s48, v1
	v_mul_f32_e32 v2, 0x4f7ffffe, v2
	v_cvt_u32_f32_e32 v2, v2
	v_mul_hi_u32 v3, v1, v3
	v_mul_lo_u32 v4, s0, v2
	v_add_nc_u32_e32 v1, v1, v3
	v_and_b32_e32 v3, 31, v0
	v_mul_hi_u32 v4, v2, v4
	v_mul_hi_u32 v1, v6, v1
	v_lshlrev_b32_e32 v11, 1, v3
	v_add_nc_u32_e32 v2, v2, v4
	v_mul_lo_u32 v4, v1, s31
	v_add_nc_u32_e32 v7, 1, v1
	v_mul_hi_u32 v2, v3, v2
	v_sub_nc_u32_e32 v4, v6, v4
	v_mul_lo_u32 v5, v2, s1
	v_cmp_le_u32_e32 vcc_lo, s31, v4
	v_add_nc_u32_e32 v8, 1, v2
	v_cndmask_b32_e32 v1, v1, v7, vcc_lo
	v_subrev_nc_u32_e32 v7, s31, v4
	v_sub_nc_u32_e32 v5, v3, v5
	v_cndmask_b32_e32 v4, v4, v7, vcc_lo
	v_subrev_nc_u32_e32 v9, s1, v5
	v_cmp_le_u32_e64 s0, s1, v5
	v_add_nc_u32_e32 v7, 1, v1
	v_cmp_le_u32_e32 vcc_lo, s31, v4
	s_mov_b32 s31, 0
	v_cndmask_b32_e64 v2, v2, v8, s0
	v_cndmask_b32_e64 v5, v5, v9, s0
	s_ashr_i32 s0, s23, 31
	v_cndmask_b32_e32 v1, v1, v7, vcc_lo
	v_mov_b32_e32 v7, 0
	v_add_nc_u32_e32 v8, 1, v2
	v_cmp_le_u32_e32 vcc_lo, s1, v5
	s_mul_i32 s1, s20, s38
	v_xor_b32_e32 v1, s6, v1
	s_sub_i32 s14, s1, s15
	v_cndmask_b32_e32 v2, v2, v8, vcc_lo
	v_subrev_nc_u32_e32 v8, s6, v1
	v_xor_b32_e32 v2, s0, v2
	v_mul_lo_u32 v1, v8, s21
	v_subrev_nc_u32_e32 v9, s0, v2
	s_mul_i32 s0, s16, s39
	s_sub_i32 s6, s0, s36
	v_mul_lo_u32 v2, v9, s23
	v_sub_nc_u32_e32 v12, v6, v1
	v_cmp_gt_i32_e32 vcc_lo, s22, v9
	v_sub_nc_u32_e32 v13, v3, v2
	s_branch .LBB43_6
.LBB43_3:                               ;   in Loop: Header=BB43_6 Depth=1
	s_or_b32 exec_lo, exec_lo, s37
.LBB43_4:                               ;   in Loop: Header=BB43_6 Depth=1
	s_or_b32 exec_lo, exec_lo, s36
.LBB43_5:                               ;   in Loop: Header=BB43_6 Depth=1
	s_or_b32 exec_lo, exec_lo, s15
	v_add_nc_u32_e32 v6, s43, v6
	v_add_nc_u32_e32 v12, s43, v12
	v_cmp_le_i32_e64 s0, s41, v6
	s_or_b32 s31, s0, s31
	s_andn2_b32 exec_lo, exec_lo, s31
	s_cbranch_execz .LBB43_22
.LBB43_6:                               ; =>This Loop Header: Depth=1
                                        ;     Child Loop BB43_8 Depth 2
                                        ;     Child Loop BB43_14 Depth 2
                                        ;       Child Loop BB43_20 Depth 3
	s_mov_b32 s1, exec_lo
	v_cmpx_le_i32_e64 s21, v12
	s_cbranch_execz .LBB43_10
; %bb.7:                                ;   in Loop: Header=BB43_6 Depth=1
	s_mov_b32 s2, 0
.LBB43_8:                               ;   Parent Loop BB43_6 Depth=1
                                        ; =>  This Inner Loop Header: Depth=2
	v_subrev_nc_u32_e32 v12, s21, v12
	v_add_nc_u32_e32 v8, 1, v8
	v_cmp_gt_i32_e64 s0, s21, v12
	s_or_b32 s2, s0, s2
	s_andn2_b32 exec_lo, exec_lo, s2
	s_cbranch_execnz .LBB43_8
; %bb.9:                                ;   in Loop: Header=BB43_6 Depth=1
	s_or_b32 exec_lo, exec_lo, s2
.LBB43_10:                              ;   in Loop: Header=BB43_6 Depth=1
	s_or_b32 exec_lo, exec_lo, s1
	v_mad_u64_u32 v[1:2], null, v12, s11, s[4:5]
	v_cmp_lt_i32_e64 s0, -1, v1
	v_cmp_gt_i32_e64 s1, s17, v1
	s_and_b32 s0, s0, s1
	s_and_saveexec_b32 s15, s0
	s_cbranch_execz .LBB43_5
; %bb.11:                               ;   in Loop: Header=BB43_6 Depth=1
	s_and_saveexec_b32 s36, vcc_lo
	s_cbranch_execz .LBB43_4
; %bb.12:                               ;   in Loop: Header=BB43_6 Depth=1
	v_mul_lo_u32 v2, s24, v8
	v_mul_lo_u32 v4, s28, v8
	;; [unrolled: 1-line block ×4, first 2 shown]
	s_mov_b32 s37, 0
	v_ashrrev_i32_e32 v3, 31, v2
	v_ashrrev_i32_e32 v5, 31, v4
	;; [unrolled: 1-line block ×4, first 2 shown]
	v_lshlrev_b64 v[1:2], 1, v[2:3]
	v_lshlrev_b64 v[3:4], 1, v[4:5]
	;; [unrolled: 1-line block ×4, first 2 shown]
	v_add_co_u32 v1, s0, s5, v1
	v_add_co_ci_u32_e64 v2, null, s25, v2, s0
	v_add_co_u32 v3, s0, s27, v3
	v_add_co_ci_u32_e64 v4, null, s29, v4, s0
	;; [unrolled: 2-line block ×5, first 2 shown]
	v_mov_b32_e32 v16, v13
	v_mov_b32_e32 v17, v9
	s_branch .LBB43_14
.LBB43_13:                              ;   in Loop: Header=BB43_14 Depth=2
	s_or_b32 exec_lo, exec_lo, s1
	s_waitcnt vmcnt(0)
	v_lshlrev_b32_e32 v3, 16, v18
	v_cmp_le_i32_e64 s0, s22, v17
	v_add_co_u32 v1, s1, v1, 64
	v_add_co_ci_u32_e64 v2, null, 0, v2, s1
	v_fmac_f32_e32 v7, v5, v3
	s_or_b32 s37, s0, s37
	s_andn2_b32 exec_lo, exec_lo, s37
	s_cbranch_execz .LBB43_3
.LBB43_14:                              ;   Parent Loop BB43_6 Depth=1
                                        ; =>  This Loop Header: Depth=2
                                        ;       Child Loop BB43_20 Depth 3
	global_load_ushort v18, v[1:2], off
	v_mad_u64_u32 v[3:4], null, v16, s13, s[6:7]
	v_mov_b32_e32 v5, 0
	s_mov_b32 s38, exec_lo
	v_cmpx_lt_i32_e32 -1, v3
	s_cbranch_execz .LBB43_18
; %bb.15:                               ;   in Loop: Header=BB43_14 Depth=2
	v_mad_u64_u32 v[4:5], null, v17, s12, s[14:15]
	v_cmp_gt_i32_e64 s0, s19, v3
	v_mov_b32_e32 v5, 0
	v_cmp_gt_i32_e64 s1, s18, v4
	v_cmp_lt_i32_e64 s2, -1, v4
	s_and_b32 s0, s0, s1
	s_and_b32 s0, s0, s2
	s_and_saveexec_b32 s1, s0
	s_cbranch_execz .LBB43_17
; %bb.16:                               ;   in Loop: Header=BB43_14 Depth=2
	v_mad_u64_u32 v[3:4], null, v4, s19, v[3:4]
	v_mov_b32_e32 v4, v10
	v_lshlrev_b64 v[3:4], 1, v[3:4]
	v_add_co_u32 v3, s0, v14, v3
	v_add_co_ci_u32_e64 v4, null, v15, v4, s0
	global_load_ushort v3, v[3:4], off
	s_waitcnt vmcnt(0)
	v_lshlrev_b32_e32 v5, 16, v3
.LBB43_17:                              ;   in Loop: Header=BB43_14 Depth=2
	s_or_b32 exec_lo, exec_lo, s1
.LBB43_18:                              ;   in Loop: Header=BB43_14 Depth=2
	s_or_b32 exec_lo, exec_lo, s38
	v_add_nc_u32_e32 v16, 32, v16
	s_mov_b32 s1, exec_lo
	v_cmpx_le_i32_e64 s23, v16
	s_cbranch_execz .LBB43_13
; %bb.19:                               ;   in Loop: Header=BB43_14 Depth=2
	s_mov_b32 s2, 0
.LBB43_20:                              ;   Parent Loop BB43_6 Depth=1
                                        ;     Parent Loop BB43_14 Depth=2
                                        ; =>    This Inner Loop Header: Depth=3
	v_subrev_nc_u32_e32 v16, s23, v16
	v_add_nc_u32_e32 v17, 1, v17
	v_cmp_gt_i32_e64 s0, s23, v16
	s_or_b32 s2, s0, s2
	s_andn2_b32 exec_lo, exec_lo, s2
	s_cbranch_execnz .LBB43_20
; %bb.21:                               ;   in Loop: Header=BB43_14 Depth=2
	s_or_b32 exec_lo, exec_lo, s2
	s_branch .LBB43_13
.LBB43_22:
	s_or_b32 exec_lo, exec_lo, s31
.LBB43_23:
	s_or_b32 exec_lo, exec_lo, s42
	v_bfe_u32 v1, v7, 16, 1
	v_cmp_o_f32_e32 vcc_lo, v7, v7
	v_mov_b32_e32 v2, 0x7fc0
	s_bcnt1_i32_b32 s1, s40
	s_mov_b32 s0, -1
	v_add3_u32 v3, v7, v1, 0x7fff
	v_lshl_add_u32 v1, v0, 1, 0
	s_cmp_lg_u32 s1, 1
	v_cndmask_b32_sdwa v2, v2, v3, vcc_lo dst_sel:DWORD dst_unused:UNUSED_PAD src0_sel:DWORD src1_sel:WORD_1
	ds_write_b16 v1, v2
	s_waitcnt lgkmcnt(0)
	s_barrier
	buffer_gl0_inv
	s_cbranch_scc1 .LBB43_33
; %bb.24:
	s_andn2_b32 vcc_lo, exec_lo, s0
	s_cbranch_vccnz .LBB43_32
.LBB43_25:
	s_cmp_lt_u32 s40, 2
	s_cbranch_scc1 .LBB43_30
; %bb.26:
	v_mov_b32_e32 v2, 0x7fc0
	s_inst_prefetch 0x1
	s_branch .LBB43_28
	.p2align	6
.LBB43_27:                              ;   in Loop: Header=BB43_28 Depth=1
	s_or_b32 exec_lo, exec_lo, s1
	s_cmp_lt_u32 s40, 4
	s_mov_b32 s40, s0
	s_waitcnt lgkmcnt(0)
	s_barrier
	buffer_gl0_inv
	s_cbranch_scc1 .LBB43_30
.LBB43_28:                              ; =>This Inner Loop Header: Depth=1
	s_lshr_b32 s0, s40, 1
	s_mov_b32 s1, exec_lo
	v_cmpx_gt_u32_e64 s0, v0
	s_cbranch_execz .LBB43_27
; %bb.29:                               ;   in Loop: Header=BB43_28 Depth=1
	v_lshl_add_u32 v3, s0, 1, v1
	ds_read_u16 v3, v3
	ds_read_u16 v4, v1
	s_waitcnt lgkmcnt(1)
	v_lshlrev_b32_e32 v3, 16, v3
	s_waitcnt lgkmcnt(0)
	v_lshlrev_b32_e32 v4, 16, v4
	v_add_f32_e32 v3, v3, v4
	v_bfe_u32 v4, v3, 16, 1
	v_cmp_o_f32_e32 vcc_lo, v3, v3
	v_add3_u32 v3, v3, v4, 0x7fff
	v_cndmask_b32_sdwa v3, v2, v3, vcc_lo dst_sel:DWORD dst_unused:UNUSED_PAD src0_sel:DWORD src1_sel:WORD_1
	ds_write_b16 v1, v3
	s_branch .LBB43_27
.LBB43_30:
	s_inst_prefetch 0x2
	s_mov_b32 s0, exec_lo
	v_cmpx_eq_u32_e32 0, v0
	s_cbranch_execz .LBB43_32
; %bb.31:
	s_mul_i32 s0, s3, s7
	v_mov_b32_e32 v0, 0
	s_ashr_i32 s1, s0, 31
	s_mul_i32 s2, s8, s33
	s_lshl_b64 s[0:1], s[0:1], 1
	ds_read_u16 v1, v0
	s_add_u32 s4, s34, s0
	s_addc_u32 s5, s35, s1
	s_ashr_i32 s3, s2, 31
	s_lshl_b64 s[0:1], s[2:3], 1
	s_mul_i32 s2, s9, s20
	s_add_u32 s4, s4, s0
	s_addc_u32 s5, s5, s1
	s_ashr_i32 s3, s2, 31
	s_lshl_b64 s[0:1], s[2:3], 1
	s_add_u32 s2, s4, s0
	s_mul_i32 s0, s10, s16
	s_addc_u32 s3, s5, s1
	s_ashr_i32 s1, s0, 31
	s_lshl_b64 s[0:1], s[0:1], 1
	s_add_u32 s0, s2, s0
	s_addc_u32 s1, s3, s1
	s_waitcnt lgkmcnt(0)
	global_store_short v0, v1, s[0:1]
.LBB43_32:
	s_endpgm
.LBB43_33:
	s_trap 2
	; divergent unreachable
	s_cbranch_execz .LBB43_25
	s_branch .LBB43_32
	.section	.rodata,"a",@progbits
	.p2align	6, 0x0
	.amdhsa_kernel _ZN2at6native12_GLOBAL__N_144conv_depthwise3d_cuda_backward_weight_kernelIN3c108BFloat16EfLin1ELin1EEEvN5torch10headeronly6detail27GenericPackedTensorAccessorINS7_14TensorAccessorINS3_8ArrayRefIlEEKT_Lm4ENS6_16DefaultPtrTraitsEiEENS_6detail16IndexBoundsCheckILm5EiEESD_Lm5ESE_iEESJ_NS8_INS9_ISB_SC_Lm4ESE_iEESI_SC_Lm5ESE_iEEiiiiiiiii
		.amdhsa_group_segment_fixed_size 0
		.amdhsa_private_segment_fixed_size 0
		.amdhsa_kernarg_size 440
		.amdhsa_user_sgpr_count 6
		.amdhsa_user_sgpr_private_segment_buffer 1
		.amdhsa_user_sgpr_dispatch_ptr 0
		.amdhsa_user_sgpr_queue_ptr 0
		.amdhsa_user_sgpr_kernarg_segment_ptr 1
		.amdhsa_user_sgpr_dispatch_id 0
		.amdhsa_user_sgpr_flat_scratch_init 0
		.amdhsa_user_sgpr_private_segment_size 0
		.amdhsa_wavefront_size32 1
		.amdhsa_uses_dynamic_stack 0
		.amdhsa_system_sgpr_private_segment_wavefront_offset 0
		.amdhsa_system_sgpr_workgroup_id_x 1
		.amdhsa_system_sgpr_workgroup_id_y 0
		.amdhsa_system_sgpr_workgroup_id_z 0
		.amdhsa_system_sgpr_workgroup_info 0
		.amdhsa_system_vgpr_workitem_id 0
		.amdhsa_next_free_vgpr 19
		.amdhsa_next_free_sgpr 49
		.amdhsa_reserve_vcc 1
		.amdhsa_reserve_flat_scratch 0
		.amdhsa_float_round_mode_32 0
		.amdhsa_float_round_mode_16_64 0
		.amdhsa_float_denorm_mode_32 3
		.amdhsa_float_denorm_mode_16_64 3
		.amdhsa_dx10_clamp 1
		.amdhsa_ieee_mode 1
		.amdhsa_fp16_overflow 0
		.amdhsa_workgroup_processor_mode 1
		.amdhsa_memory_ordered 1
		.amdhsa_forward_progress 1
		.amdhsa_shared_vgpr_count 0
		.amdhsa_exception_fp_ieee_invalid_op 0
		.amdhsa_exception_fp_denorm_src 0
		.amdhsa_exception_fp_ieee_div_zero 0
		.amdhsa_exception_fp_ieee_overflow 0
		.amdhsa_exception_fp_ieee_underflow 0
		.amdhsa_exception_fp_ieee_inexact 0
		.amdhsa_exception_int_div_zero 0
	.end_amdhsa_kernel
	.section	.text._ZN2at6native12_GLOBAL__N_144conv_depthwise3d_cuda_backward_weight_kernelIN3c108BFloat16EfLin1ELin1EEEvN5torch10headeronly6detail27GenericPackedTensorAccessorINS7_14TensorAccessorINS3_8ArrayRefIlEEKT_Lm4ENS6_16DefaultPtrTraitsEiEENS_6detail16IndexBoundsCheckILm5EiEESD_Lm5ESE_iEESJ_NS8_INS9_ISB_SC_Lm4ESE_iEESI_SC_Lm5ESE_iEEiiiiiiiii,"axG",@progbits,_ZN2at6native12_GLOBAL__N_144conv_depthwise3d_cuda_backward_weight_kernelIN3c108BFloat16EfLin1ELin1EEEvN5torch10headeronly6detail27GenericPackedTensorAccessorINS7_14TensorAccessorINS3_8ArrayRefIlEEKT_Lm4ENS6_16DefaultPtrTraitsEiEENS_6detail16IndexBoundsCheckILm5EiEESD_Lm5ESE_iEESJ_NS8_INS9_ISB_SC_Lm4ESE_iEESI_SC_Lm5ESE_iEEiiiiiiiii,comdat
.Lfunc_end43:
	.size	_ZN2at6native12_GLOBAL__N_144conv_depthwise3d_cuda_backward_weight_kernelIN3c108BFloat16EfLin1ELin1EEEvN5torch10headeronly6detail27GenericPackedTensorAccessorINS7_14TensorAccessorINS3_8ArrayRefIlEEKT_Lm4ENS6_16DefaultPtrTraitsEiEENS_6detail16IndexBoundsCheckILm5EiEESD_Lm5ESE_iEESJ_NS8_INS9_ISB_SC_Lm4ESE_iEESI_SC_Lm5ESE_iEEiiiiiiiii, .Lfunc_end43-_ZN2at6native12_GLOBAL__N_144conv_depthwise3d_cuda_backward_weight_kernelIN3c108BFloat16EfLin1ELin1EEEvN5torch10headeronly6detail27GenericPackedTensorAccessorINS7_14TensorAccessorINS3_8ArrayRefIlEEKT_Lm4ENS6_16DefaultPtrTraitsEiEENS_6detail16IndexBoundsCheckILm5EiEESD_Lm5ESE_iEESJ_NS8_INS9_ISB_SC_Lm4ESE_iEESI_SC_Lm5ESE_iEEiiiiiiiii
                                        ; -- End function
	.set _ZN2at6native12_GLOBAL__N_144conv_depthwise3d_cuda_backward_weight_kernelIN3c108BFloat16EfLin1ELin1EEEvN5torch10headeronly6detail27GenericPackedTensorAccessorINS7_14TensorAccessorINS3_8ArrayRefIlEEKT_Lm4ENS6_16DefaultPtrTraitsEiEENS_6detail16IndexBoundsCheckILm5EiEESD_Lm5ESE_iEESJ_NS8_INS9_ISB_SC_Lm4ESE_iEESI_SC_Lm5ESE_iEEiiiiiiiii.num_vgpr, 19
	.set _ZN2at6native12_GLOBAL__N_144conv_depthwise3d_cuda_backward_weight_kernelIN3c108BFloat16EfLin1ELin1EEEvN5torch10headeronly6detail27GenericPackedTensorAccessorINS7_14TensorAccessorINS3_8ArrayRefIlEEKT_Lm4ENS6_16DefaultPtrTraitsEiEENS_6detail16IndexBoundsCheckILm5EiEESD_Lm5ESE_iEESJ_NS8_INS9_ISB_SC_Lm4ESE_iEESI_SC_Lm5ESE_iEEiiiiiiiii.num_agpr, 0
	.set _ZN2at6native12_GLOBAL__N_144conv_depthwise3d_cuda_backward_weight_kernelIN3c108BFloat16EfLin1ELin1EEEvN5torch10headeronly6detail27GenericPackedTensorAccessorINS7_14TensorAccessorINS3_8ArrayRefIlEEKT_Lm4ENS6_16DefaultPtrTraitsEiEENS_6detail16IndexBoundsCheckILm5EiEESD_Lm5ESE_iEESJ_NS8_INS9_ISB_SC_Lm4ESE_iEESI_SC_Lm5ESE_iEEiiiiiiiii.numbered_sgpr, 49
	.set _ZN2at6native12_GLOBAL__N_144conv_depthwise3d_cuda_backward_weight_kernelIN3c108BFloat16EfLin1ELin1EEEvN5torch10headeronly6detail27GenericPackedTensorAccessorINS7_14TensorAccessorINS3_8ArrayRefIlEEKT_Lm4ENS6_16DefaultPtrTraitsEiEENS_6detail16IndexBoundsCheckILm5EiEESD_Lm5ESE_iEESJ_NS8_INS9_ISB_SC_Lm4ESE_iEESI_SC_Lm5ESE_iEEiiiiiiiii.num_named_barrier, 0
	.set _ZN2at6native12_GLOBAL__N_144conv_depthwise3d_cuda_backward_weight_kernelIN3c108BFloat16EfLin1ELin1EEEvN5torch10headeronly6detail27GenericPackedTensorAccessorINS7_14TensorAccessorINS3_8ArrayRefIlEEKT_Lm4ENS6_16DefaultPtrTraitsEiEENS_6detail16IndexBoundsCheckILm5EiEESD_Lm5ESE_iEESJ_NS8_INS9_ISB_SC_Lm4ESE_iEESI_SC_Lm5ESE_iEEiiiiiiiii.private_seg_size, 0
	.set _ZN2at6native12_GLOBAL__N_144conv_depthwise3d_cuda_backward_weight_kernelIN3c108BFloat16EfLin1ELin1EEEvN5torch10headeronly6detail27GenericPackedTensorAccessorINS7_14TensorAccessorINS3_8ArrayRefIlEEKT_Lm4ENS6_16DefaultPtrTraitsEiEENS_6detail16IndexBoundsCheckILm5EiEESD_Lm5ESE_iEESJ_NS8_INS9_ISB_SC_Lm4ESE_iEESI_SC_Lm5ESE_iEEiiiiiiiii.uses_vcc, 1
	.set _ZN2at6native12_GLOBAL__N_144conv_depthwise3d_cuda_backward_weight_kernelIN3c108BFloat16EfLin1ELin1EEEvN5torch10headeronly6detail27GenericPackedTensorAccessorINS7_14TensorAccessorINS3_8ArrayRefIlEEKT_Lm4ENS6_16DefaultPtrTraitsEiEENS_6detail16IndexBoundsCheckILm5EiEESD_Lm5ESE_iEESJ_NS8_INS9_ISB_SC_Lm4ESE_iEESI_SC_Lm5ESE_iEEiiiiiiiii.uses_flat_scratch, 0
	.set _ZN2at6native12_GLOBAL__N_144conv_depthwise3d_cuda_backward_weight_kernelIN3c108BFloat16EfLin1ELin1EEEvN5torch10headeronly6detail27GenericPackedTensorAccessorINS7_14TensorAccessorINS3_8ArrayRefIlEEKT_Lm4ENS6_16DefaultPtrTraitsEiEENS_6detail16IndexBoundsCheckILm5EiEESD_Lm5ESE_iEESJ_NS8_INS9_ISB_SC_Lm4ESE_iEESI_SC_Lm5ESE_iEEiiiiiiiii.has_dyn_sized_stack, 0
	.set _ZN2at6native12_GLOBAL__N_144conv_depthwise3d_cuda_backward_weight_kernelIN3c108BFloat16EfLin1ELin1EEEvN5torch10headeronly6detail27GenericPackedTensorAccessorINS7_14TensorAccessorINS3_8ArrayRefIlEEKT_Lm4ENS6_16DefaultPtrTraitsEiEENS_6detail16IndexBoundsCheckILm5EiEESD_Lm5ESE_iEESJ_NS8_INS9_ISB_SC_Lm4ESE_iEESI_SC_Lm5ESE_iEEiiiiiiiii.has_recursion, 0
	.set _ZN2at6native12_GLOBAL__N_144conv_depthwise3d_cuda_backward_weight_kernelIN3c108BFloat16EfLin1ELin1EEEvN5torch10headeronly6detail27GenericPackedTensorAccessorINS7_14TensorAccessorINS3_8ArrayRefIlEEKT_Lm4ENS6_16DefaultPtrTraitsEiEENS_6detail16IndexBoundsCheckILm5EiEESD_Lm5ESE_iEESJ_NS8_INS9_ISB_SC_Lm4ESE_iEESI_SC_Lm5ESE_iEEiiiiiiiii.has_indirect_call, 0
	.section	.AMDGPU.csdata,"",@progbits
; Kernel info:
; codeLenInByte = 2068
; TotalNumSgprs: 51
; NumVgprs: 19
; ScratchSize: 0
; MemoryBound: 0
; FloatMode: 240
; IeeeMode: 1
; LDSByteSize: 0 bytes/workgroup (compile time only)
; SGPRBlocks: 0
; VGPRBlocks: 2
; NumSGPRsForWavesPerEU: 51
; NumVGPRsForWavesPerEU: 19
; Occupancy: 16
; WaveLimiterHint : 1
; COMPUTE_PGM_RSRC2:SCRATCH_EN: 0
; COMPUTE_PGM_RSRC2:USER_SGPR: 6
; COMPUTE_PGM_RSRC2:TRAP_HANDLER: 0
; COMPUTE_PGM_RSRC2:TGID_X_EN: 1
; COMPUTE_PGM_RSRC2:TGID_Y_EN: 0
; COMPUTE_PGM_RSRC2:TGID_Z_EN: 0
; COMPUTE_PGM_RSRC2:TIDIG_COMP_CNT: 0
	.section	.AMDGPU.gpr_maximums,"",@progbits
	.set amdgpu.max_num_vgpr, 0
	.set amdgpu.max_num_agpr, 0
	.set amdgpu.max_num_sgpr, 0
	.section	.AMDGPU.csdata,"",@progbits
	.type	__hip_cuid_7247781b9c774515,@object ; @__hip_cuid_7247781b9c774515
	.section	.bss,"aw",@nobits
	.globl	__hip_cuid_7247781b9c774515
__hip_cuid_7247781b9c774515:
	.byte	0                               ; 0x0
	.size	__hip_cuid_7247781b9c774515, 1

	.ident	"AMD clang version 22.0.0git (https://github.com/RadeonOpenCompute/llvm-project roc-7.2.4 26084 f58b06dce1f9c15707c5f808fd002e18c2accf7e)"
	.section	".note.GNU-stack","",@progbits
	.addrsig
	.addrsig_sym __hip_cuid_7247781b9c774515
	.amdgpu_metadata
---
amdhsa.kernels:
  - .args:
      - .offset:         0
        .size:           48
        .value_kind:     by_value
      - .offset:         48
        .size:           48
        .value_kind:     by_value
      - .offset:         96
        .size:           48
        .value_kind:     by_value
      - .address_space:  global
        .offset:         144
        .size:           8
        .value_kind:     global_buffer
      - .offset:         152
        .size:           4
        .value_kind:     by_value
      - .offset:         156
        .size:           4
        .value_kind:     by_value
      - .offset:         160
        .size:           4
        .value_kind:     by_value
      - .offset:         164
        .size:           4
        .value_kind:     by_value
      - .offset:         168
        .size:           4
        .value_kind:     by_value
      - .offset:         172
        .size:           4
        .value_kind:     by_value
      - .offset:         176
        .size:           4
        .value_kind:     by_value
      - .offset:         180
        .size:           4
        .value_kind:     by_value
      - .offset:         184
        .size:           4
        .value_kind:     by_value
      - .offset:         192
        .size:           4
        .value_kind:     hidden_block_count_x
      - .offset:         196
        .size:           4
        .value_kind:     hidden_block_count_y
      - .offset:         200
        .size:           4
        .value_kind:     hidden_block_count_z
      - .offset:         204
        .size:           2
        .value_kind:     hidden_group_size_x
      - .offset:         206
        .size:           2
        .value_kind:     hidden_group_size_y
      - .offset:         208
        .size:           2
        .value_kind:     hidden_group_size_z
      - .offset:         210
        .size:           2
        .value_kind:     hidden_remainder_x
      - .offset:         212
        .size:           2
        .value_kind:     hidden_remainder_y
      - .offset:         214
        .size:           2
        .value_kind:     hidden_remainder_z
      - .offset:         232
        .size:           8
        .value_kind:     hidden_global_offset_x
      - .offset:         240
        .size:           8
        .value_kind:     hidden_global_offset_y
      - .offset:         248
        .size:           8
        .value_kind:     hidden_global_offset_z
      - .offset:         256
        .size:           2
        .value_kind:     hidden_grid_dims
    .group_segment_fixed_size: 0
    .kernarg_segment_align: 8
    .kernarg_segment_size: 448
    .language:       OpenCL C
    .language_version:
      - 2
      - 0
    .max_flat_workgroup_size: 1024
    .name:           _ZN2at6native12_GLOBAL__N_128conv_depthwise3d_cuda_kernelIddLi3ELi3ELi3ELi1ELi1ELi1EEEvN5torch10headeronly6detail27GenericPackedTensorAccessorINS5_14TensorAccessorIN3c108ArrayRefIlEEKT_Lm4ENS4_16DefaultPtrTraitsEiEENS_6detail16IndexBoundsCheckILm5EiEESC_Lm5ESD_iEENS6_INS7_ISA_SB_Lm4ESD_iEESH_SB_Lm5ESD_iEESI_PSC_iiiiiiiii
    .private_segment_fixed_size: 0
    .sgpr_count:     72
    .sgpr_spill_count: 0
    .symbol:         _ZN2at6native12_GLOBAL__N_128conv_depthwise3d_cuda_kernelIddLi3ELi3ELi3ELi1ELi1ELi1EEEvN5torch10headeronly6detail27GenericPackedTensorAccessorINS5_14TensorAccessorIN3c108ArrayRefIlEEKT_Lm4ENS4_16DefaultPtrTraitsEiEENS_6detail16IndexBoundsCheckILm5EiEESC_Lm5ESD_iEENS6_INS7_ISA_SB_Lm4ESD_iEESH_SB_Lm5ESD_iEESI_PSC_iiiiiiiii.kd
    .uniform_work_group_size: 1
    .uses_dynamic_stack: false
    .vgpr_count:     30
    .vgpr_spill_count: 0
    .wavefront_size: 32
    .workgroup_processor_mode: 1
  - .args:
      - .offset:         0
        .size:           48
        .value_kind:     by_value
      - .offset:         48
        .size:           48
        .value_kind:     by_value
      - .offset:         96
        .size:           48
        .value_kind:     by_value
      - .address_space:  global
        .offset:         144
        .size:           8
        .value_kind:     global_buffer
      - .offset:         152
        .size:           4
        .value_kind:     by_value
      - .offset:         156
        .size:           4
        .value_kind:     by_value
      - .offset:         160
        .size:           4
        .value_kind:     by_value
      - .offset:         164
        .size:           4
        .value_kind:     by_value
      - .offset:         168
        .size:           4
        .value_kind:     by_value
      - .offset:         172
        .size:           4
        .value_kind:     by_value
      - .offset:         176
        .size:           4
        .value_kind:     by_value
      - .offset:         180
        .size:           4
        .value_kind:     by_value
      - .offset:         184
        .size:           4
        .value_kind:     by_value
      - .offset:         192
        .size:           4
        .value_kind:     hidden_block_count_x
      - .offset:         196
        .size:           4
        .value_kind:     hidden_block_count_y
      - .offset:         200
        .size:           4
        .value_kind:     hidden_block_count_z
      - .offset:         204
        .size:           2
        .value_kind:     hidden_group_size_x
      - .offset:         206
        .size:           2
        .value_kind:     hidden_group_size_y
      - .offset:         208
        .size:           2
        .value_kind:     hidden_group_size_z
      - .offset:         210
        .size:           2
        .value_kind:     hidden_remainder_x
      - .offset:         212
        .size:           2
        .value_kind:     hidden_remainder_y
      - .offset:         214
        .size:           2
        .value_kind:     hidden_remainder_z
      - .offset:         232
        .size:           8
        .value_kind:     hidden_global_offset_x
      - .offset:         240
        .size:           8
        .value_kind:     hidden_global_offset_y
      - .offset:         248
        .size:           8
        .value_kind:     hidden_global_offset_z
      - .offset:         256
        .size:           2
        .value_kind:     hidden_grid_dims
    .group_segment_fixed_size: 0
    .kernarg_segment_align: 8
    .kernarg_segment_size: 448
    .language:       OpenCL C
    .language_version:
      - 2
      - 0
    .max_flat_workgroup_size: 1024
    .name:           _ZN2at6native12_GLOBAL__N_128conv_depthwise3d_cuda_kernelIddLin1ELin1ELin1ELi1ELi1ELi1EEEvN5torch10headeronly6detail27GenericPackedTensorAccessorINS5_14TensorAccessorIN3c108ArrayRefIlEEKT_Lm4ENS4_16DefaultPtrTraitsEiEENS_6detail16IndexBoundsCheckILm5EiEESC_Lm5ESD_iEENS6_INS7_ISA_SB_Lm4ESD_iEESH_SB_Lm5ESD_iEESI_PSC_iiiiiiiii
    .private_segment_fixed_size: 0
    .sgpr_count:     68
    .sgpr_spill_count: 0
    .symbol:         _ZN2at6native12_GLOBAL__N_128conv_depthwise3d_cuda_kernelIddLin1ELin1ELin1ELi1ELi1ELi1EEEvN5torch10headeronly6detail27GenericPackedTensorAccessorINS5_14TensorAccessorIN3c108ArrayRefIlEEKT_Lm4ENS4_16DefaultPtrTraitsEiEENS_6detail16IndexBoundsCheckILm5EiEESC_Lm5ESD_iEENS6_INS7_ISA_SB_Lm4ESD_iEESH_SB_Lm5ESD_iEESI_PSC_iiiiiiiii.kd
    .uniform_work_group_size: 1
    .uses_dynamic_stack: false
    .vgpr_count:     32
    .vgpr_spill_count: 0
    .wavefront_size: 32
    .workgroup_processor_mode: 1
  - .args:
      - .offset:         0
        .size:           48
        .value_kind:     by_value
      - .offset:         48
        .size:           48
        .value_kind:     by_value
      - .offset:         96
        .size:           48
        .value_kind:     by_value
      - .address_space:  global
        .offset:         144
        .size:           8
        .value_kind:     global_buffer
      - .offset:         152
        .size:           4
        .value_kind:     by_value
      - .offset:         156
        .size:           4
        .value_kind:     by_value
      - .offset:         160
        .size:           4
        .value_kind:     by_value
      - .offset:         164
        .size:           4
        .value_kind:     by_value
      - .offset:         168
        .size:           4
        .value_kind:     by_value
      - .offset:         172
        .size:           4
        .value_kind:     by_value
      - .offset:         176
        .size:           4
        .value_kind:     by_value
      - .offset:         180
        .size:           4
        .value_kind:     by_value
      - .offset:         184
        .size:           4
        .value_kind:     by_value
      - .offset:         192
        .size:           4
        .value_kind:     hidden_block_count_x
      - .offset:         196
        .size:           4
        .value_kind:     hidden_block_count_y
      - .offset:         200
        .size:           4
        .value_kind:     hidden_block_count_z
      - .offset:         204
        .size:           2
        .value_kind:     hidden_group_size_x
      - .offset:         206
        .size:           2
        .value_kind:     hidden_group_size_y
      - .offset:         208
        .size:           2
        .value_kind:     hidden_group_size_z
      - .offset:         210
        .size:           2
        .value_kind:     hidden_remainder_x
      - .offset:         212
        .size:           2
        .value_kind:     hidden_remainder_y
      - .offset:         214
        .size:           2
        .value_kind:     hidden_remainder_z
      - .offset:         232
        .size:           8
        .value_kind:     hidden_global_offset_x
      - .offset:         240
        .size:           8
        .value_kind:     hidden_global_offset_y
      - .offset:         248
        .size:           8
        .value_kind:     hidden_global_offset_z
      - .offset:         256
        .size:           2
        .value_kind:     hidden_grid_dims
    .group_segment_fixed_size: 0
    .kernarg_segment_align: 8
    .kernarg_segment_size: 448
    .language:       OpenCL C
    .language_version:
      - 2
      - 0
    .max_flat_workgroup_size: 1024
    .name:           _ZN2at6native12_GLOBAL__N_128conv_depthwise3d_cuda_kernelIddLin1ELin1ELin1ELin1ELin1ELin1EEEvN5torch10headeronly6detail27GenericPackedTensorAccessorINS5_14TensorAccessorIN3c108ArrayRefIlEEKT_Lm4ENS4_16DefaultPtrTraitsEiEENS_6detail16IndexBoundsCheckILm5EiEESC_Lm5ESD_iEENS6_INS7_ISA_SB_Lm4ESD_iEESH_SB_Lm5ESD_iEESI_PSC_iiiiiiiii
    .private_segment_fixed_size: 0
    .sgpr_count:     73
    .sgpr_spill_count: 0
    .symbol:         _ZN2at6native12_GLOBAL__N_128conv_depthwise3d_cuda_kernelIddLin1ELin1ELin1ELin1ELin1ELin1EEEvN5torch10headeronly6detail27GenericPackedTensorAccessorINS5_14TensorAccessorIN3c108ArrayRefIlEEKT_Lm4ENS4_16DefaultPtrTraitsEiEENS_6detail16IndexBoundsCheckILm5EiEESC_Lm5ESD_iEENS6_INS7_ISA_SB_Lm4ESD_iEESH_SB_Lm5ESD_iEESI_PSC_iiiiiiiii.kd
    .uniform_work_group_size: 1
    .uses_dynamic_stack: false
    .vgpr_count:     32
    .vgpr_spill_count: 0
    .wavefront_size: 32
    .workgroup_processor_mode: 1
  - .args:
      - .offset:         0
        .size:           48
        .value_kind:     by_value
      - .offset:         48
        .size:           48
        .value_kind:     by_value
      - .offset:         96
        .size:           48
        .value_kind:     by_value
      - .address_space:  global
        .offset:         144
        .size:           8
        .value_kind:     global_buffer
      - .offset:         152
        .size:           4
        .value_kind:     by_value
      - .offset:         156
        .size:           4
        .value_kind:     by_value
      - .offset:         160
        .size:           4
        .value_kind:     by_value
      - .offset:         164
        .size:           4
        .value_kind:     by_value
      - .offset:         168
        .size:           4
        .value_kind:     by_value
      - .offset:         172
        .size:           4
        .value_kind:     by_value
      - .offset:         176
        .size:           4
        .value_kind:     by_value
      - .offset:         180
        .size:           4
        .value_kind:     by_value
      - .offset:         184
        .size:           4
        .value_kind:     by_value
      - .offset:         192
        .size:           4
        .value_kind:     hidden_block_count_x
      - .offset:         196
        .size:           4
        .value_kind:     hidden_block_count_y
      - .offset:         200
        .size:           4
        .value_kind:     hidden_block_count_z
      - .offset:         204
        .size:           2
        .value_kind:     hidden_group_size_x
      - .offset:         206
        .size:           2
        .value_kind:     hidden_group_size_y
      - .offset:         208
        .size:           2
        .value_kind:     hidden_group_size_z
      - .offset:         210
        .size:           2
        .value_kind:     hidden_remainder_x
      - .offset:         212
        .size:           2
        .value_kind:     hidden_remainder_y
      - .offset:         214
        .size:           2
        .value_kind:     hidden_remainder_z
      - .offset:         232
        .size:           8
        .value_kind:     hidden_global_offset_x
      - .offset:         240
        .size:           8
        .value_kind:     hidden_global_offset_y
      - .offset:         248
        .size:           8
        .value_kind:     hidden_global_offset_z
      - .offset:         256
        .size:           2
        .value_kind:     hidden_grid_dims
    .group_segment_fixed_size: 0
    .kernarg_segment_align: 8
    .kernarg_segment_size: 448
    .language:       OpenCL C
    .language_version:
      - 2
      - 0
    .max_flat_workgroup_size: 1024
    .name:           _ZN2at6native12_GLOBAL__N_128conv_depthwise3d_cuda_kernelIffLi3ELi3ELi3ELi1ELi1ELi1EEEvN5torch10headeronly6detail27GenericPackedTensorAccessorINS5_14TensorAccessorIN3c108ArrayRefIlEEKT_Lm4ENS4_16DefaultPtrTraitsEiEENS_6detail16IndexBoundsCheckILm5EiEESC_Lm5ESD_iEENS6_INS7_ISA_SB_Lm4ESD_iEESH_SB_Lm5ESD_iEESI_PSC_iiiiiiiii
    .private_segment_fixed_size: 0
    .sgpr_count:     72
    .sgpr_spill_count: 0
    .symbol:         _ZN2at6native12_GLOBAL__N_128conv_depthwise3d_cuda_kernelIffLi3ELi3ELi3ELi1ELi1ELi1EEEvN5torch10headeronly6detail27GenericPackedTensorAccessorINS5_14TensorAccessorIN3c108ArrayRefIlEEKT_Lm4ENS4_16DefaultPtrTraitsEiEENS_6detail16IndexBoundsCheckILm5EiEESC_Lm5ESD_iEENS6_INS7_ISA_SB_Lm4ESD_iEESH_SB_Lm5ESD_iEESI_PSC_iiiiiiiii.kd
    .uniform_work_group_size: 1
    .uses_dynamic_stack: false
    .vgpr_count:     29
    .vgpr_spill_count: 0
    .wavefront_size: 32
    .workgroup_processor_mode: 1
  - .args:
      - .offset:         0
        .size:           48
        .value_kind:     by_value
      - .offset:         48
        .size:           48
        .value_kind:     by_value
      - .offset:         96
        .size:           48
        .value_kind:     by_value
      - .address_space:  global
        .offset:         144
        .size:           8
        .value_kind:     global_buffer
      - .offset:         152
        .size:           4
        .value_kind:     by_value
      - .offset:         156
        .size:           4
        .value_kind:     by_value
      - .offset:         160
        .size:           4
        .value_kind:     by_value
      - .offset:         164
        .size:           4
        .value_kind:     by_value
      - .offset:         168
        .size:           4
        .value_kind:     by_value
      - .offset:         172
        .size:           4
        .value_kind:     by_value
      - .offset:         176
        .size:           4
        .value_kind:     by_value
      - .offset:         180
        .size:           4
        .value_kind:     by_value
      - .offset:         184
        .size:           4
        .value_kind:     by_value
      - .offset:         192
        .size:           4
        .value_kind:     hidden_block_count_x
      - .offset:         196
        .size:           4
        .value_kind:     hidden_block_count_y
      - .offset:         200
        .size:           4
        .value_kind:     hidden_block_count_z
      - .offset:         204
        .size:           2
        .value_kind:     hidden_group_size_x
      - .offset:         206
        .size:           2
        .value_kind:     hidden_group_size_y
      - .offset:         208
        .size:           2
        .value_kind:     hidden_group_size_z
      - .offset:         210
        .size:           2
        .value_kind:     hidden_remainder_x
      - .offset:         212
        .size:           2
        .value_kind:     hidden_remainder_y
      - .offset:         214
        .size:           2
        .value_kind:     hidden_remainder_z
      - .offset:         232
        .size:           8
        .value_kind:     hidden_global_offset_x
      - .offset:         240
        .size:           8
        .value_kind:     hidden_global_offset_y
      - .offset:         248
        .size:           8
        .value_kind:     hidden_global_offset_z
      - .offset:         256
        .size:           2
        .value_kind:     hidden_grid_dims
    .group_segment_fixed_size: 0
    .kernarg_segment_align: 8
    .kernarg_segment_size: 448
    .language:       OpenCL C
    .language_version:
      - 2
      - 0
    .max_flat_workgroup_size: 1024
    .name:           _ZN2at6native12_GLOBAL__N_128conv_depthwise3d_cuda_kernelIffLin1ELin1ELin1ELi1ELi1ELi1EEEvN5torch10headeronly6detail27GenericPackedTensorAccessorINS5_14TensorAccessorIN3c108ArrayRefIlEEKT_Lm4ENS4_16DefaultPtrTraitsEiEENS_6detail16IndexBoundsCheckILm5EiEESC_Lm5ESD_iEENS6_INS7_ISA_SB_Lm4ESD_iEESH_SB_Lm5ESD_iEESI_PSC_iiiiiiiii
    .private_segment_fixed_size: 0
    .sgpr_count:     68
    .sgpr_spill_count: 0
    .symbol:         _ZN2at6native12_GLOBAL__N_128conv_depthwise3d_cuda_kernelIffLin1ELin1ELin1ELi1ELi1ELi1EEEvN5torch10headeronly6detail27GenericPackedTensorAccessorINS5_14TensorAccessorIN3c108ArrayRefIlEEKT_Lm4ENS4_16DefaultPtrTraitsEiEENS_6detail16IndexBoundsCheckILm5EiEESC_Lm5ESD_iEENS6_INS7_ISA_SB_Lm4ESD_iEESH_SB_Lm5ESD_iEESI_PSC_iiiiiiiii.kd
    .uniform_work_group_size: 1
    .uses_dynamic_stack: false
    .vgpr_count:     30
    .vgpr_spill_count: 0
    .wavefront_size: 32
    .workgroup_processor_mode: 1
  - .args:
      - .offset:         0
        .size:           48
        .value_kind:     by_value
      - .offset:         48
        .size:           48
        .value_kind:     by_value
      - .offset:         96
        .size:           48
        .value_kind:     by_value
      - .address_space:  global
        .offset:         144
        .size:           8
        .value_kind:     global_buffer
      - .offset:         152
        .size:           4
        .value_kind:     by_value
      - .offset:         156
        .size:           4
        .value_kind:     by_value
      - .offset:         160
        .size:           4
        .value_kind:     by_value
      - .offset:         164
        .size:           4
        .value_kind:     by_value
      - .offset:         168
        .size:           4
        .value_kind:     by_value
      - .offset:         172
        .size:           4
        .value_kind:     by_value
      - .offset:         176
        .size:           4
        .value_kind:     by_value
      - .offset:         180
        .size:           4
        .value_kind:     by_value
      - .offset:         184
        .size:           4
        .value_kind:     by_value
      - .offset:         192
        .size:           4
        .value_kind:     hidden_block_count_x
      - .offset:         196
        .size:           4
        .value_kind:     hidden_block_count_y
      - .offset:         200
        .size:           4
        .value_kind:     hidden_block_count_z
      - .offset:         204
        .size:           2
        .value_kind:     hidden_group_size_x
      - .offset:         206
        .size:           2
        .value_kind:     hidden_group_size_y
      - .offset:         208
        .size:           2
        .value_kind:     hidden_group_size_z
      - .offset:         210
        .size:           2
        .value_kind:     hidden_remainder_x
      - .offset:         212
        .size:           2
        .value_kind:     hidden_remainder_y
      - .offset:         214
        .size:           2
        .value_kind:     hidden_remainder_z
      - .offset:         232
        .size:           8
        .value_kind:     hidden_global_offset_x
      - .offset:         240
        .size:           8
        .value_kind:     hidden_global_offset_y
      - .offset:         248
        .size:           8
        .value_kind:     hidden_global_offset_z
      - .offset:         256
        .size:           2
        .value_kind:     hidden_grid_dims
    .group_segment_fixed_size: 0
    .kernarg_segment_align: 8
    .kernarg_segment_size: 448
    .language:       OpenCL C
    .language_version:
      - 2
      - 0
    .max_flat_workgroup_size: 1024
    .name:           _ZN2at6native12_GLOBAL__N_128conv_depthwise3d_cuda_kernelIffLin1ELin1ELin1ELin1ELin1ELin1EEEvN5torch10headeronly6detail27GenericPackedTensorAccessorINS5_14TensorAccessorIN3c108ArrayRefIlEEKT_Lm4ENS4_16DefaultPtrTraitsEiEENS_6detail16IndexBoundsCheckILm5EiEESC_Lm5ESD_iEENS6_INS7_ISA_SB_Lm4ESD_iEESH_SB_Lm5ESD_iEESI_PSC_iiiiiiiii
    .private_segment_fixed_size: 0
    .sgpr_count:     73
    .sgpr_spill_count: 0
    .symbol:         _ZN2at6native12_GLOBAL__N_128conv_depthwise3d_cuda_kernelIffLin1ELin1ELin1ELin1ELin1ELin1EEEvN5torch10headeronly6detail27GenericPackedTensorAccessorINS5_14TensorAccessorIN3c108ArrayRefIlEEKT_Lm4ENS4_16DefaultPtrTraitsEiEENS_6detail16IndexBoundsCheckILm5EiEESC_Lm5ESD_iEENS6_INS7_ISA_SB_Lm4ESD_iEESH_SB_Lm5ESD_iEESI_PSC_iiiiiiiii.kd
    .uniform_work_group_size: 1
    .uses_dynamic_stack: false
    .vgpr_count:     30
    .vgpr_spill_count: 0
    .wavefront_size: 32
    .workgroup_processor_mode: 1
  - .args:
      - .offset:         0
        .size:           48
        .value_kind:     by_value
      - .offset:         48
        .size:           48
        .value_kind:     by_value
      - .offset:         96
        .size:           48
        .value_kind:     by_value
      - .address_space:  global
        .offset:         144
        .size:           8
        .value_kind:     global_buffer
      - .offset:         152
        .size:           4
        .value_kind:     by_value
      - .offset:         156
        .size:           4
        .value_kind:     by_value
      - .offset:         160
        .size:           4
        .value_kind:     by_value
      - .offset:         164
        .size:           4
        .value_kind:     by_value
      - .offset:         168
        .size:           4
        .value_kind:     by_value
      - .offset:         172
        .size:           4
        .value_kind:     by_value
      - .offset:         176
        .size:           4
        .value_kind:     by_value
      - .offset:         180
        .size:           4
        .value_kind:     by_value
      - .offset:         184
        .size:           4
        .value_kind:     by_value
      - .offset:         192
        .size:           4
        .value_kind:     hidden_block_count_x
      - .offset:         196
        .size:           4
        .value_kind:     hidden_block_count_y
      - .offset:         200
        .size:           4
        .value_kind:     hidden_block_count_z
      - .offset:         204
        .size:           2
        .value_kind:     hidden_group_size_x
      - .offset:         206
        .size:           2
        .value_kind:     hidden_group_size_y
      - .offset:         208
        .size:           2
        .value_kind:     hidden_group_size_z
      - .offset:         210
        .size:           2
        .value_kind:     hidden_remainder_x
      - .offset:         212
        .size:           2
        .value_kind:     hidden_remainder_y
      - .offset:         214
        .size:           2
        .value_kind:     hidden_remainder_z
      - .offset:         232
        .size:           8
        .value_kind:     hidden_global_offset_x
      - .offset:         240
        .size:           8
        .value_kind:     hidden_global_offset_y
      - .offset:         248
        .size:           8
        .value_kind:     hidden_global_offset_z
      - .offset:         256
        .size:           2
        .value_kind:     hidden_grid_dims
    .group_segment_fixed_size: 0
    .kernarg_segment_align: 8
    .kernarg_segment_size: 448
    .language:       OpenCL C
    .language_version:
      - 2
      - 0
    .max_flat_workgroup_size: 1024
    .name:           _ZN2at6native12_GLOBAL__N_128conv_depthwise3d_cuda_kernelIN3c104HalfEfLi3ELi3ELi3ELi1ELi1ELi1EEEvN5torch10headeronly6detail27GenericPackedTensorAccessorINS7_14TensorAccessorINS3_8ArrayRefIlEEKT_Lm4ENS6_16DefaultPtrTraitsEiEENS_6detail16IndexBoundsCheckILm5EiEESD_Lm5ESE_iEENS8_INS9_ISB_SC_Lm4ESE_iEESI_SC_Lm5ESE_iEESJ_PSD_iiiiiiiii
    .private_segment_fixed_size: 0
    .sgpr_count:     72
    .sgpr_spill_count: 0
    .symbol:         _ZN2at6native12_GLOBAL__N_128conv_depthwise3d_cuda_kernelIN3c104HalfEfLi3ELi3ELi3ELi1ELi1ELi1EEEvN5torch10headeronly6detail27GenericPackedTensorAccessorINS7_14TensorAccessorINS3_8ArrayRefIlEEKT_Lm4ENS6_16DefaultPtrTraitsEiEENS_6detail16IndexBoundsCheckILm5EiEESD_Lm5ESE_iEENS8_INS9_ISB_SC_Lm4ESE_iEESI_SC_Lm5ESE_iEESJ_PSD_iiiiiiiii.kd
    .uniform_work_group_size: 1
    .uses_dynamic_stack: false
    .vgpr_count:     29
    .vgpr_spill_count: 0
    .wavefront_size: 32
    .workgroup_processor_mode: 1
  - .args:
      - .offset:         0
        .size:           48
        .value_kind:     by_value
      - .offset:         48
        .size:           48
        .value_kind:     by_value
      - .offset:         96
        .size:           48
        .value_kind:     by_value
      - .address_space:  global
        .offset:         144
        .size:           8
        .value_kind:     global_buffer
      - .offset:         152
        .size:           4
        .value_kind:     by_value
      - .offset:         156
        .size:           4
        .value_kind:     by_value
      - .offset:         160
        .size:           4
        .value_kind:     by_value
      - .offset:         164
        .size:           4
        .value_kind:     by_value
      - .offset:         168
        .size:           4
        .value_kind:     by_value
      - .offset:         172
        .size:           4
        .value_kind:     by_value
      - .offset:         176
        .size:           4
        .value_kind:     by_value
      - .offset:         180
        .size:           4
        .value_kind:     by_value
      - .offset:         184
        .size:           4
        .value_kind:     by_value
      - .offset:         192
        .size:           4
        .value_kind:     hidden_block_count_x
      - .offset:         196
        .size:           4
        .value_kind:     hidden_block_count_y
      - .offset:         200
        .size:           4
        .value_kind:     hidden_block_count_z
      - .offset:         204
        .size:           2
        .value_kind:     hidden_group_size_x
      - .offset:         206
        .size:           2
        .value_kind:     hidden_group_size_y
      - .offset:         208
        .size:           2
        .value_kind:     hidden_group_size_z
      - .offset:         210
        .size:           2
        .value_kind:     hidden_remainder_x
      - .offset:         212
        .size:           2
        .value_kind:     hidden_remainder_y
      - .offset:         214
        .size:           2
        .value_kind:     hidden_remainder_z
      - .offset:         232
        .size:           8
        .value_kind:     hidden_global_offset_x
      - .offset:         240
        .size:           8
        .value_kind:     hidden_global_offset_y
      - .offset:         248
        .size:           8
        .value_kind:     hidden_global_offset_z
      - .offset:         256
        .size:           2
        .value_kind:     hidden_grid_dims
    .group_segment_fixed_size: 0
    .kernarg_segment_align: 8
    .kernarg_segment_size: 448
    .language:       OpenCL C
    .language_version:
      - 2
      - 0
    .max_flat_workgroup_size: 1024
    .name:           _ZN2at6native12_GLOBAL__N_128conv_depthwise3d_cuda_kernelIN3c104HalfEfLin1ELin1ELin1ELi1ELi1ELi1EEEvN5torch10headeronly6detail27GenericPackedTensorAccessorINS7_14TensorAccessorINS3_8ArrayRefIlEEKT_Lm4ENS6_16DefaultPtrTraitsEiEENS_6detail16IndexBoundsCheckILm5EiEESD_Lm5ESE_iEENS8_INS9_ISB_SC_Lm4ESE_iEESI_SC_Lm5ESE_iEESJ_PSD_iiiiiiiii
    .private_segment_fixed_size: 0
    .sgpr_count:     68
    .sgpr_spill_count: 0
    .symbol:         _ZN2at6native12_GLOBAL__N_128conv_depthwise3d_cuda_kernelIN3c104HalfEfLin1ELin1ELin1ELi1ELi1ELi1EEEvN5torch10headeronly6detail27GenericPackedTensorAccessorINS7_14TensorAccessorINS3_8ArrayRefIlEEKT_Lm4ENS6_16DefaultPtrTraitsEiEENS_6detail16IndexBoundsCheckILm5EiEESD_Lm5ESE_iEENS8_INS9_ISB_SC_Lm4ESE_iEESI_SC_Lm5ESE_iEESJ_PSD_iiiiiiiii.kd
    .uniform_work_group_size: 1
    .uses_dynamic_stack: false
    .vgpr_count:     30
    .vgpr_spill_count: 0
    .wavefront_size: 32
    .workgroup_processor_mode: 1
  - .args:
      - .offset:         0
        .size:           48
        .value_kind:     by_value
      - .offset:         48
        .size:           48
        .value_kind:     by_value
      - .offset:         96
        .size:           48
        .value_kind:     by_value
      - .address_space:  global
        .offset:         144
        .size:           8
        .value_kind:     global_buffer
      - .offset:         152
        .size:           4
        .value_kind:     by_value
      - .offset:         156
        .size:           4
        .value_kind:     by_value
      - .offset:         160
        .size:           4
        .value_kind:     by_value
      - .offset:         164
        .size:           4
        .value_kind:     by_value
      - .offset:         168
        .size:           4
        .value_kind:     by_value
      - .offset:         172
        .size:           4
        .value_kind:     by_value
      - .offset:         176
        .size:           4
        .value_kind:     by_value
      - .offset:         180
        .size:           4
        .value_kind:     by_value
      - .offset:         184
        .size:           4
        .value_kind:     by_value
      - .offset:         192
        .size:           4
        .value_kind:     hidden_block_count_x
      - .offset:         196
        .size:           4
        .value_kind:     hidden_block_count_y
      - .offset:         200
        .size:           4
        .value_kind:     hidden_block_count_z
      - .offset:         204
        .size:           2
        .value_kind:     hidden_group_size_x
      - .offset:         206
        .size:           2
        .value_kind:     hidden_group_size_y
      - .offset:         208
        .size:           2
        .value_kind:     hidden_group_size_z
      - .offset:         210
        .size:           2
        .value_kind:     hidden_remainder_x
      - .offset:         212
        .size:           2
        .value_kind:     hidden_remainder_y
      - .offset:         214
        .size:           2
        .value_kind:     hidden_remainder_z
      - .offset:         232
        .size:           8
        .value_kind:     hidden_global_offset_x
      - .offset:         240
        .size:           8
        .value_kind:     hidden_global_offset_y
      - .offset:         248
        .size:           8
        .value_kind:     hidden_global_offset_z
      - .offset:         256
        .size:           2
        .value_kind:     hidden_grid_dims
    .group_segment_fixed_size: 0
    .kernarg_segment_align: 8
    .kernarg_segment_size: 448
    .language:       OpenCL C
    .language_version:
      - 2
      - 0
    .max_flat_workgroup_size: 1024
    .name:           _ZN2at6native12_GLOBAL__N_128conv_depthwise3d_cuda_kernelIN3c104HalfEfLin1ELin1ELin1ELin1ELin1ELin1EEEvN5torch10headeronly6detail27GenericPackedTensorAccessorINS7_14TensorAccessorINS3_8ArrayRefIlEEKT_Lm4ENS6_16DefaultPtrTraitsEiEENS_6detail16IndexBoundsCheckILm5EiEESD_Lm5ESE_iEENS8_INS9_ISB_SC_Lm4ESE_iEESI_SC_Lm5ESE_iEESJ_PSD_iiiiiiiii
    .private_segment_fixed_size: 0
    .sgpr_count:     73
    .sgpr_spill_count: 0
    .symbol:         _ZN2at6native12_GLOBAL__N_128conv_depthwise3d_cuda_kernelIN3c104HalfEfLin1ELin1ELin1ELin1ELin1ELin1EEEvN5torch10headeronly6detail27GenericPackedTensorAccessorINS7_14TensorAccessorINS3_8ArrayRefIlEEKT_Lm4ENS6_16DefaultPtrTraitsEiEENS_6detail16IndexBoundsCheckILm5EiEESD_Lm5ESE_iEENS8_INS9_ISB_SC_Lm4ESE_iEESI_SC_Lm5ESE_iEESJ_PSD_iiiiiiiii.kd
    .uniform_work_group_size: 1
    .uses_dynamic_stack: false
    .vgpr_count:     30
    .vgpr_spill_count: 0
    .wavefront_size: 32
    .workgroup_processor_mode: 1
  - .args:
      - .offset:         0
        .size:           48
        .value_kind:     by_value
      - .offset:         48
        .size:           48
        .value_kind:     by_value
      - .offset:         96
        .size:           48
        .value_kind:     by_value
      - .address_space:  global
        .offset:         144
        .size:           8
        .value_kind:     global_buffer
      - .offset:         152
        .size:           4
        .value_kind:     by_value
      - .offset:         156
        .size:           4
        .value_kind:     by_value
      - .offset:         160
        .size:           4
        .value_kind:     by_value
      - .offset:         164
        .size:           4
        .value_kind:     by_value
      - .offset:         168
        .size:           4
        .value_kind:     by_value
      - .offset:         172
        .size:           4
        .value_kind:     by_value
      - .offset:         176
        .size:           4
        .value_kind:     by_value
      - .offset:         180
        .size:           4
        .value_kind:     by_value
      - .offset:         184
        .size:           4
        .value_kind:     by_value
      - .offset:         192
        .size:           4
        .value_kind:     hidden_block_count_x
      - .offset:         196
        .size:           4
        .value_kind:     hidden_block_count_y
      - .offset:         200
        .size:           4
        .value_kind:     hidden_block_count_z
      - .offset:         204
        .size:           2
        .value_kind:     hidden_group_size_x
      - .offset:         206
        .size:           2
        .value_kind:     hidden_group_size_y
      - .offset:         208
        .size:           2
        .value_kind:     hidden_group_size_z
      - .offset:         210
        .size:           2
        .value_kind:     hidden_remainder_x
      - .offset:         212
        .size:           2
        .value_kind:     hidden_remainder_y
      - .offset:         214
        .size:           2
        .value_kind:     hidden_remainder_z
      - .offset:         232
        .size:           8
        .value_kind:     hidden_global_offset_x
      - .offset:         240
        .size:           8
        .value_kind:     hidden_global_offset_y
      - .offset:         248
        .size:           8
        .value_kind:     hidden_global_offset_z
      - .offset:         256
        .size:           2
        .value_kind:     hidden_grid_dims
    .group_segment_fixed_size: 0
    .kernarg_segment_align: 8
    .kernarg_segment_size: 448
    .language:       OpenCL C
    .language_version:
      - 2
      - 0
    .max_flat_workgroup_size: 1024
    .name:           _ZN2at6native12_GLOBAL__N_128conv_depthwise3d_cuda_kernelIN3c108BFloat16EfLi3ELi3ELi3ELi1ELi1ELi1EEEvN5torch10headeronly6detail27GenericPackedTensorAccessorINS7_14TensorAccessorINS3_8ArrayRefIlEEKT_Lm4ENS6_16DefaultPtrTraitsEiEENS_6detail16IndexBoundsCheckILm5EiEESD_Lm5ESE_iEENS8_INS9_ISB_SC_Lm4ESE_iEESI_SC_Lm5ESE_iEESJ_PSD_iiiiiiiii
    .private_segment_fixed_size: 0
    .sgpr_count:     72
    .sgpr_spill_count: 0
    .symbol:         _ZN2at6native12_GLOBAL__N_128conv_depthwise3d_cuda_kernelIN3c108BFloat16EfLi3ELi3ELi3ELi1ELi1ELi1EEEvN5torch10headeronly6detail27GenericPackedTensorAccessorINS7_14TensorAccessorINS3_8ArrayRefIlEEKT_Lm4ENS6_16DefaultPtrTraitsEiEENS_6detail16IndexBoundsCheckILm5EiEESD_Lm5ESE_iEENS8_INS9_ISB_SC_Lm4ESE_iEESI_SC_Lm5ESE_iEESJ_PSD_iiiiiiiii.kd
    .uniform_work_group_size: 1
    .uses_dynamic_stack: false
    .vgpr_count:     30
    .vgpr_spill_count: 0
    .wavefront_size: 32
    .workgroup_processor_mode: 1
  - .args:
      - .offset:         0
        .size:           48
        .value_kind:     by_value
      - .offset:         48
        .size:           48
        .value_kind:     by_value
      - .offset:         96
        .size:           48
        .value_kind:     by_value
      - .address_space:  global
        .offset:         144
        .size:           8
        .value_kind:     global_buffer
      - .offset:         152
        .size:           4
        .value_kind:     by_value
      - .offset:         156
        .size:           4
        .value_kind:     by_value
      - .offset:         160
        .size:           4
        .value_kind:     by_value
      - .offset:         164
        .size:           4
        .value_kind:     by_value
      - .offset:         168
        .size:           4
        .value_kind:     by_value
      - .offset:         172
        .size:           4
        .value_kind:     by_value
      - .offset:         176
        .size:           4
        .value_kind:     by_value
      - .offset:         180
        .size:           4
        .value_kind:     by_value
      - .offset:         184
        .size:           4
        .value_kind:     by_value
      - .offset:         192
        .size:           4
        .value_kind:     hidden_block_count_x
      - .offset:         196
        .size:           4
        .value_kind:     hidden_block_count_y
      - .offset:         200
        .size:           4
        .value_kind:     hidden_block_count_z
      - .offset:         204
        .size:           2
        .value_kind:     hidden_group_size_x
      - .offset:         206
        .size:           2
        .value_kind:     hidden_group_size_y
      - .offset:         208
        .size:           2
        .value_kind:     hidden_group_size_z
      - .offset:         210
        .size:           2
        .value_kind:     hidden_remainder_x
      - .offset:         212
        .size:           2
        .value_kind:     hidden_remainder_y
      - .offset:         214
        .size:           2
        .value_kind:     hidden_remainder_z
      - .offset:         232
        .size:           8
        .value_kind:     hidden_global_offset_x
      - .offset:         240
        .size:           8
        .value_kind:     hidden_global_offset_y
      - .offset:         248
        .size:           8
        .value_kind:     hidden_global_offset_z
      - .offset:         256
        .size:           2
        .value_kind:     hidden_grid_dims
    .group_segment_fixed_size: 0
    .kernarg_segment_align: 8
    .kernarg_segment_size: 448
    .language:       OpenCL C
    .language_version:
      - 2
      - 0
    .max_flat_workgroup_size: 1024
    .name:           _ZN2at6native12_GLOBAL__N_128conv_depthwise3d_cuda_kernelIN3c108BFloat16EfLin1ELin1ELin1ELi1ELi1ELi1EEEvN5torch10headeronly6detail27GenericPackedTensorAccessorINS7_14TensorAccessorINS3_8ArrayRefIlEEKT_Lm4ENS6_16DefaultPtrTraitsEiEENS_6detail16IndexBoundsCheckILm5EiEESD_Lm5ESE_iEENS8_INS9_ISB_SC_Lm4ESE_iEESI_SC_Lm5ESE_iEESJ_PSD_iiiiiiiii
    .private_segment_fixed_size: 0
    .sgpr_count:     68
    .sgpr_spill_count: 0
    .symbol:         _ZN2at6native12_GLOBAL__N_128conv_depthwise3d_cuda_kernelIN3c108BFloat16EfLin1ELin1ELin1ELi1ELi1ELi1EEEvN5torch10headeronly6detail27GenericPackedTensorAccessorINS7_14TensorAccessorINS3_8ArrayRefIlEEKT_Lm4ENS6_16DefaultPtrTraitsEiEENS_6detail16IndexBoundsCheckILm5EiEESD_Lm5ESE_iEENS8_INS9_ISB_SC_Lm4ESE_iEESI_SC_Lm5ESE_iEESJ_PSD_iiiiiiiii.kd
    .uniform_work_group_size: 1
    .uses_dynamic_stack: false
    .vgpr_count:     31
    .vgpr_spill_count: 0
    .wavefront_size: 32
    .workgroup_processor_mode: 1
  - .args:
      - .offset:         0
        .size:           48
        .value_kind:     by_value
      - .offset:         48
        .size:           48
        .value_kind:     by_value
      - .offset:         96
        .size:           48
        .value_kind:     by_value
      - .address_space:  global
        .offset:         144
        .size:           8
        .value_kind:     global_buffer
      - .offset:         152
        .size:           4
        .value_kind:     by_value
      - .offset:         156
        .size:           4
        .value_kind:     by_value
      - .offset:         160
        .size:           4
        .value_kind:     by_value
      - .offset:         164
        .size:           4
        .value_kind:     by_value
      - .offset:         168
        .size:           4
        .value_kind:     by_value
      - .offset:         172
        .size:           4
        .value_kind:     by_value
      - .offset:         176
        .size:           4
        .value_kind:     by_value
      - .offset:         180
        .size:           4
        .value_kind:     by_value
      - .offset:         184
        .size:           4
        .value_kind:     by_value
      - .offset:         192
        .size:           4
        .value_kind:     hidden_block_count_x
      - .offset:         196
        .size:           4
        .value_kind:     hidden_block_count_y
      - .offset:         200
        .size:           4
        .value_kind:     hidden_block_count_z
      - .offset:         204
        .size:           2
        .value_kind:     hidden_group_size_x
      - .offset:         206
        .size:           2
        .value_kind:     hidden_group_size_y
      - .offset:         208
        .size:           2
        .value_kind:     hidden_group_size_z
      - .offset:         210
        .size:           2
        .value_kind:     hidden_remainder_x
      - .offset:         212
        .size:           2
        .value_kind:     hidden_remainder_y
      - .offset:         214
        .size:           2
        .value_kind:     hidden_remainder_z
      - .offset:         232
        .size:           8
        .value_kind:     hidden_global_offset_x
      - .offset:         240
        .size:           8
        .value_kind:     hidden_global_offset_y
      - .offset:         248
        .size:           8
        .value_kind:     hidden_global_offset_z
      - .offset:         256
        .size:           2
        .value_kind:     hidden_grid_dims
    .group_segment_fixed_size: 0
    .kernarg_segment_align: 8
    .kernarg_segment_size: 448
    .language:       OpenCL C
    .language_version:
      - 2
      - 0
    .max_flat_workgroup_size: 1024
    .name:           _ZN2at6native12_GLOBAL__N_128conv_depthwise3d_cuda_kernelIN3c108BFloat16EfLin1ELin1ELin1ELin1ELin1ELin1EEEvN5torch10headeronly6detail27GenericPackedTensorAccessorINS7_14TensorAccessorINS3_8ArrayRefIlEEKT_Lm4ENS6_16DefaultPtrTraitsEiEENS_6detail16IndexBoundsCheckILm5EiEESD_Lm5ESE_iEENS8_INS9_ISB_SC_Lm4ESE_iEESI_SC_Lm5ESE_iEESJ_PSD_iiiiiiiii
    .private_segment_fixed_size: 0
    .sgpr_count:     73
    .sgpr_spill_count: 0
    .symbol:         _ZN2at6native12_GLOBAL__N_128conv_depthwise3d_cuda_kernelIN3c108BFloat16EfLin1ELin1ELin1ELin1ELin1ELin1EEEvN5torch10headeronly6detail27GenericPackedTensorAccessorINS7_14TensorAccessorINS3_8ArrayRefIlEEKT_Lm4ENS6_16DefaultPtrTraitsEiEENS_6detail16IndexBoundsCheckILm5EiEESD_Lm5ESE_iEENS8_INS9_ISB_SC_Lm4ESE_iEESI_SC_Lm5ESE_iEESJ_PSD_iiiiiiiii.kd
    .uniform_work_group_size: 1
    .uses_dynamic_stack: false
    .vgpr_count:     31
    .vgpr_spill_count: 0
    .wavefront_size: 32
    .workgroup_processor_mode: 1
  - .args:
      - .offset:         0
        .size:           48
        .value_kind:     by_value
      - .offset:         48
        .size:           48
        .value_kind:     by_value
      - .offset:         96
        .size:           48
        .value_kind:     by_value
      - .offset:         144
        .size:           4
        .value_kind:     by_value
      - .offset:         148
        .size:           4
        .value_kind:     by_value
      - .offset:         152
        .size:           4
        .value_kind:     by_value
      - .offset:         156
        .size:           4
        .value_kind:     by_value
      - .offset:         160
        .size:           4
        .value_kind:     by_value
      - .offset:         164
        .size:           4
        .value_kind:     by_value
      - .offset:         168
        .size:           4
        .value_kind:     by_value
      - .offset:         172
        .size:           4
        .value_kind:     by_value
      - .offset:         176
        .size:           4
        .value_kind:     by_value
      - .offset:         184
        .size:           4
        .value_kind:     hidden_block_count_x
      - .offset:         188
        .size:           4
        .value_kind:     hidden_block_count_y
      - .offset:         192
        .size:           4
        .value_kind:     hidden_block_count_z
      - .offset:         196
        .size:           2
        .value_kind:     hidden_group_size_x
      - .offset:         198
        .size:           2
        .value_kind:     hidden_group_size_y
      - .offset:         200
        .size:           2
        .value_kind:     hidden_group_size_z
      - .offset:         202
        .size:           2
        .value_kind:     hidden_remainder_x
      - .offset:         204
        .size:           2
        .value_kind:     hidden_remainder_y
      - .offset:         206
        .size:           2
        .value_kind:     hidden_remainder_z
      - .offset:         224
        .size:           8
        .value_kind:     hidden_global_offset_x
      - .offset:         232
        .size:           8
        .value_kind:     hidden_global_offset_y
      - .offset:         240
        .size:           8
        .value_kind:     hidden_global_offset_z
      - .offset:         248
        .size:           2
        .value_kind:     hidden_grid_dims
    .group_segment_fixed_size: 0
    .kernarg_segment_align: 8
    .kernarg_segment_size: 440
    .language:       OpenCL C
    .language_version:
      - 2
      - 0
    .max_flat_workgroup_size: 1024
    .name:           _ZN2at6native12_GLOBAL__N_143conv_depthwise3d_cuda_backward_input_kernelIddLi3ELi3ELi3ELi1ELi1ELi1ELi1ELi1ELi1EEEvN5torch10headeronly6detail27GenericPackedTensorAccessorINS5_14TensorAccessorIN3c108ArrayRefIlEEKT_Lm4ENS4_16DefaultPtrTraitsEiEENS_6detail16IndexBoundsCheckILm5EiEESC_Lm5ESD_iEENS6_INS7_ISA_SB_Lm4ESD_iEESH_SB_Lm5ESD_iEESI_iiiiiiiii
    .private_segment_fixed_size: 228
    .sgpr_count:     78
    .sgpr_spill_count: 0
    .symbol:         _ZN2at6native12_GLOBAL__N_143conv_depthwise3d_cuda_backward_input_kernelIddLi3ELi3ELi3ELi1ELi1ELi1ELi1ELi1ELi1EEEvN5torch10headeronly6detail27GenericPackedTensorAccessorINS5_14TensorAccessorIN3c108ArrayRefIlEEKT_Lm4ENS4_16DefaultPtrTraitsEiEENS_6detail16IndexBoundsCheckILm5EiEESC_Lm5ESD_iEENS6_INS7_ISA_SB_Lm4ESD_iEESH_SB_Lm5ESD_iEESI_iiiiiiiii.kd
    .uniform_work_group_size: 1
    .uses_dynamic_stack: false
    .vgpr_count:     128
    .vgpr_spill_count: 56
    .wavefront_size: 32
    .workgroup_processor_mode: 1
  - .args:
      - .offset:         0
        .size:           48
        .value_kind:     by_value
      - .offset:         48
        .size:           48
        .value_kind:     by_value
      - .offset:         96
        .size:           48
        .value_kind:     by_value
      - .offset:         144
        .size:           4
        .value_kind:     by_value
      - .offset:         148
        .size:           4
        .value_kind:     by_value
      - .offset:         152
        .size:           4
        .value_kind:     by_value
      - .offset:         156
        .size:           4
        .value_kind:     by_value
      - .offset:         160
        .size:           4
        .value_kind:     by_value
      - .offset:         164
        .size:           4
        .value_kind:     by_value
      - .offset:         168
        .size:           4
        .value_kind:     by_value
      - .offset:         172
        .size:           4
        .value_kind:     by_value
      - .offset:         176
        .size:           4
        .value_kind:     by_value
      - .offset:         184
        .size:           4
        .value_kind:     hidden_block_count_x
      - .offset:         188
        .size:           4
        .value_kind:     hidden_block_count_y
      - .offset:         192
        .size:           4
        .value_kind:     hidden_block_count_z
      - .offset:         196
        .size:           2
        .value_kind:     hidden_group_size_x
      - .offset:         198
        .size:           2
        .value_kind:     hidden_group_size_y
      - .offset:         200
        .size:           2
        .value_kind:     hidden_group_size_z
      - .offset:         202
        .size:           2
        .value_kind:     hidden_remainder_x
      - .offset:         204
        .size:           2
        .value_kind:     hidden_remainder_y
      - .offset:         206
        .size:           2
        .value_kind:     hidden_remainder_z
      - .offset:         224
        .size:           8
        .value_kind:     hidden_global_offset_x
      - .offset:         232
        .size:           8
        .value_kind:     hidden_global_offset_y
      - .offset:         240
        .size:           8
        .value_kind:     hidden_global_offset_z
      - .offset:         248
        .size:           2
        .value_kind:     hidden_grid_dims
    .group_segment_fixed_size: 0
    .kernarg_segment_align: 8
    .kernarg_segment_size: 440
    .language:       OpenCL C
    .language_version:
      - 2
      - 0
    .max_flat_workgroup_size: 1024
    .name:           _ZN2at6native12_GLOBAL__N_143conv_depthwise3d_cuda_backward_input_kernelIddLi3ELi3ELi3ELi1ELi1ELi1ELin1ELin1ELin1EEEvN5torch10headeronly6detail27GenericPackedTensorAccessorINS5_14TensorAccessorIN3c108ArrayRefIlEEKT_Lm4ENS4_16DefaultPtrTraitsEiEENS_6detail16IndexBoundsCheckILm5EiEESC_Lm5ESD_iEENS6_INS7_ISA_SB_Lm4ESD_iEESH_SB_Lm5ESD_iEESI_iiiiiiiii
    .private_segment_fixed_size: 244
    .sgpr_count:     107
    .sgpr_spill_count: 10
    .symbol:         _ZN2at6native12_GLOBAL__N_143conv_depthwise3d_cuda_backward_input_kernelIddLi3ELi3ELi3ELi1ELi1ELi1ELin1ELin1ELin1EEEvN5torch10headeronly6detail27GenericPackedTensorAccessorINS5_14TensorAccessorIN3c108ArrayRefIlEEKT_Lm4ENS4_16DefaultPtrTraitsEiEENS_6detail16IndexBoundsCheckILm5EiEESC_Lm5ESD_iEENS6_INS7_ISA_SB_Lm4ESD_iEESH_SB_Lm5ESD_iEESI_iiiiiiiii.kd
    .uniform_work_group_size: 1
    .uses_dynamic_stack: false
    .vgpr_count:     128
    .vgpr_spill_count: 60
    .wavefront_size: 32
    .workgroup_processor_mode: 1
  - .args:
      - .offset:         0
        .size:           48
        .value_kind:     by_value
      - .offset:         48
        .size:           48
        .value_kind:     by_value
      - .offset:         96
        .size:           48
        .value_kind:     by_value
      - .offset:         144
        .size:           4
        .value_kind:     by_value
      - .offset:         148
        .size:           4
        .value_kind:     by_value
      - .offset:         152
        .size:           4
        .value_kind:     by_value
      - .offset:         156
        .size:           4
        .value_kind:     by_value
      - .offset:         160
        .size:           4
        .value_kind:     by_value
      - .offset:         164
        .size:           4
        .value_kind:     by_value
      - .offset:         168
        .size:           4
        .value_kind:     by_value
      - .offset:         172
        .size:           4
        .value_kind:     by_value
      - .offset:         176
        .size:           4
        .value_kind:     by_value
      - .offset:         184
        .size:           4
        .value_kind:     hidden_block_count_x
      - .offset:         188
        .size:           4
        .value_kind:     hidden_block_count_y
      - .offset:         192
        .size:           4
        .value_kind:     hidden_block_count_z
      - .offset:         196
        .size:           2
        .value_kind:     hidden_group_size_x
      - .offset:         198
        .size:           2
        .value_kind:     hidden_group_size_y
      - .offset:         200
        .size:           2
        .value_kind:     hidden_group_size_z
      - .offset:         202
        .size:           2
        .value_kind:     hidden_remainder_x
      - .offset:         204
        .size:           2
        .value_kind:     hidden_remainder_y
      - .offset:         206
        .size:           2
        .value_kind:     hidden_remainder_z
      - .offset:         224
        .size:           8
        .value_kind:     hidden_global_offset_x
      - .offset:         232
        .size:           8
        .value_kind:     hidden_global_offset_y
      - .offset:         240
        .size:           8
        .value_kind:     hidden_global_offset_z
      - .offset:         248
        .size:           2
        .value_kind:     hidden_grid_dims
    .group_segment_fixed_size: 0
    .kernarg_segment_align: 8
    .kernarg_segment_size: 440
    .language:       OpenCL C
    .language_version:
      - 2
      - 0
    .max_flat_workgroup_size: 1024
    .name:           _ZN2at6native12_GLOBAL__N_143conv_depthwise3d_cuda_backward_input_kernelIddLi3ELi3ELi3ELin1ELin1ELin1ELi1ELi1ELi1EEEvN5torch10headeronly6detail27GenericPackedTensorAccessorINS5_14TensorAccessorIN3c108ArrayRefIlEEKT_Lm4ENS4_16DefaultPtrTraitsEiEENS_6detail16IndexBoundsCheckILm5EiEESC_Lm5ESD_iEENS6_INS7_ISA_SB_Lm4ESD_iEESH_SB_Lm5ESD_iEESI_iiiiiiiii
    .private_segment_fixed_size: 228
    .sgpr_count:     86
    .sgpr_spill_count: 0
    .symbol:         _ZN2at6native12_GLOBAL__N_143conv_depthwise3d_cuda_backward_input_kernelIddLi3ELi3ELi3ELin1ELin1ELin1ELi1ELi1ELi1EEEvN5torch10headeronly6detail27GenericPackedTensorAccessorINS5_14TensorAccessorIN3c108ArrayRefIlEEKT_Lm4ENS4_16DefaultPtrTraitsEiEENS_6detail16IndexBoundsCheckILm5EiEESC_Lm5ESD_iEENS6_INS7_ISA_SB_Lm4ESD_iEESH_SB_Lm5ESD_iEESI_iiiiiiiii.kd
    .uniform_work_group_size: 1
    .uses_dynamic_stack: false
    .vgpr_count:     128
    .vgpr_spill_count: 56
    .wavefront_size: 32
    .workgroup_processor_mode: 1
  - .args:
      - .offset:         0
        .size:           48
        .value_kind:     by_value
      - .offset:         48
        .size:           48
        .value_kind:     by_value
      - .offset:         96
        .size:           48
        .value_kind:     by_value
      - .offset:         144
        .size:           4
        .value_kind:     by_value
      - .offset:         148
        .size:           4
        .value_kind:     by_value
      - .offset:         152
        .size:           4
        .value_kind:     by_value
      - .offset:         156
        .size:           4
        .value_kind:     by_value
      - .offset:         160
        .size:           4
        .value_kind:     by_value
      - .offset:         164
        .size:           4
        .value_kind:     by_value
      - .offset:         168
        .size:           4
        .value_kind:     by_value
      - .offset:         172
        .size:           4
        .value_kind:     by_value
      - .offset:         176
        .size:           4
        .value_kind:     by_value
      - .offset:         184
        .size:           4
        .value_kind:     hidden_block_count_x
      - .offset:         188
        .size:           4
        .value_kind:     hidden_block_count_y
      - .offset:         192
        .size:           4
        .value_kind:     hidden_block_count_z
      - .offset:         196
        .size:           2
        .value_kind:     hidden_group_size_x
      - .offset:         198
        .size:           2
        .value_kind:     hidden_group_size_y
      - .offset:         200
        .size:           2
        .value_kind:     hidden_group_size_z
      - .offset:         202
        .size:           2
        .value_kind:     hidden_remainder_x
      - .offset:         204
        .size:           2
        .value_kind:     hidden_remainder_y
      - .offset:         206
        .size:           2
        .value_kind:     hidden_remainder_z
      - .offset:         224
        .size:           8
        .value_kind:     hidden_global_offset_x
      - .offset:         232
        .size:           8
        .value_kind:     hidden_global_offset_y
      - .offset:         240
        .size:           8
        .value_kind:     hidden_global_offset_z
      - .offset:         248
        .size:           2
        .value_kind:     hidden_grid_dims
    .group_segment_fixed_size: 0
    .kernarg_segment_align: 8
    .kernarg_segment_size: 440
    .language:       OpenCL C
    .language_version:
      - 2
      - 0
    .max_flat_workgroup_size: 1024
    .name:           _ZN2at6native12_GLOBAL__N_143conv_depthwise3d_cuda_backward_input_kernelIddLi3ELi3ELi3ELin1ELin1ELin1ELin1ELin1ELin1EEEvN5torch10headeronly6detail27GenericPackedTensorAccessorINS5_14TensorAccessorIN3c108ArrayRefIlEEKT_Lm4ENS4_16DefaultPtrTraitsEiEENS_6detail16IndexBoundsCheckILm5EiEESC_Lm5ESD_iEENS6_INS7_ISA_SB_Lm4ESD_iEESH_SB_Lm5ESD_iEESI_iiiiiiiii
    .private_segment_fixed_size: 244
    .sgpr_count:     107
    .sgpr_spill_count: 15
    .symbol:         _ZN2at6native12_GLOBAL__N_143conv_depthwise3d_cuda_backward_input_kernelIddLi3ELi3ELi3ELin1ELin1ELin1ELin1ELin1ELin1EEEvN5torch10headeronly6detail27GenericPackedTensorAccessorINS5_14TensorAccessorIN3c108ArrayRefIlEEKT_Lm4ENS4_16DefaultPtrTraitsEiEENS_6detail16IndexBoundsCheckILm5EiEESC_Lm5ESD_iEENS6_INS7_ISA_SB_Lm4ESD_iEESH_SB_Lm5ESD_iEESI_iiiiiiiii.kd
    .uniform_work_group_size: 1
    .uses_dynamic_stack: false
    .vgpr_count:     128
    .vgpr_spill_count: 60
    .wavefront_size: 32
    .workgroup_processor_mode: 1
  - .args:
      - .offset:         0
        .size:           48
        .value_kind:     by_value
      - .offset:         48
        .size:           48
        .value_kind:     by_value
      - .offset:         96
        .size:           48
        .value_kind:     by_value
      - .offset:         144
        .size:           4
        .value_kind:     by_value
      - .offset:         148
        .size:           4
        .value_kind:     by_value
      - .offset:         152
        .size:           4
        .value_kind:     by_value
      - .offset:         156
        .size:           4
        .value_kind:     by_value
      - .offset:         160
        .size:           4
        .value_kind:     by_value
      - .offset:         164
        .size:           4
        .value_kind:     by_value
      - .offset:         168
        .size:           4
        .value_kind:     by_value
      - .offset:         172
        .size:           4
        .value_kind:     by_value
      - .offset:         176
        .size:           4
        .value_kind:     by_value
      - .offset:         184
        .size:           4
        .value_kind:     hidden_block_count_x
      - .offset:         188
        .size:           4
        .value_kind:     hidden_block_count_y
      - .offset:         192
        .size:           4
        .value_kind:     hidden_block_count_z
      - .offset:         196
        .size:           2
        .value_kind:     hidden_group_size_x
      - .offset:         198
        .size:           2
        .value_kind:     hidden_group_size_y
      - .offset:         200
        .size:           2
        .value_kind:     hidden_group_size_z
      - .offset:         202
        .size:           2
        .value_kind:     hidden_remainder_x
      - .offset:         204
        .size:           2
        .value_kind:     hidden_remainder_y
      - .offset:         206
        .size:           2
        .value_kind:     hidden_remainder_z
      - .offset:         224
        .size:           8
        .value_kind:     hidden_global_offset_x
      - .offset:         232
        .size:           8
        .value_kind:     hidden_global_offset_y
      - .offset:         240
        .size:           8
        .value_kind:     hidden_global_offset_z
      - .offset:         248
        .size:           2
        .value_kind:     hidden_grid_dims
    .group_segment_fixed_size: 0
    .kernarg_segment_align: 8
    .kernarg_segment_size: 440
    .language:       OpenCL C
    .language_version:
      - 2
      - 0
    .max_flat_workgroup_size: 1024
    .name:           _ZN2at6native12_GLOBAL__N_143conv_depthwise3d_cuda_backward_input_kernelIddLin1ELin1ELin1ELin1ELin1ELin1ELin1ELin1ELin1EEEvN5torch10headeronly6detail27GenericPackedTensorAccessorINS5_14TensorAccessorIN3c108ArrayRefIlEEKT_Lm4ENS4_16DefaultPtrTraitsEiEENS_6detail16IndexBoundsCheckILm5EiEESC_Lm5ESD_iEENS6_INS7_ISA_SB_Lm4ESD_iEESH_SB_Lm5ESD_iEESI_iiiiiiiii
    .private_segment_fixed_size: 0
    .sgpr_count:     70
    .sgpr_spill_count: 0
    .symbol:         _ZN2at6native12_GLOBAL__N_143conv_depthwise3d_cuda_backward_input_kernelIddLin1ELin1ELin1ELin1ELin1ELin1ELin1ELin1ELin1EEEvN5torch10headeronly6detail27GenericPackedTensorAccessorINS5_14TensorAccessorIN3c108ArrayRefIlEEKT_Lm4ENS4_16DefaultPtrTraitsEiEENS_6detail16IndexBoundsCheckILm5EiEESC_Lm5ESD_iEENS6_INS7_ISA_SB_Lm4ESD_iEESH_SB_Lm5ESD_iEESI_iiiiiiiii.kd
    .uniform_work_group_size: 1
    .uses_dynamic_stack: false
    .vgpr_count:     36
    .vgpr_spill_count: 0
    .wavefront_size: 32
    .workgroup_processor_mode: 1
  - .args:
      - .offset:         0
        .size:           48
        .value_kind:     by_value
      - .offset:         48
        .size:           48
        .value_kind:     by_value
      - .offset:         96
        .size:           48
        .value_kind:     by_value
      - .offset:         144
        .size:           4
        .value_kind:     by_value
      - .offset:         148
        .size:           4
        .value_kind:     by_value
      - .offset:         152
        .size:           4
        .value_kind:     by_value
      - .offset:         156
        .size:           4
        .value_kind:     by_value
      - .offset:         160
        .size:           4
        .value_kind:     by_value
      - .offset:         164
        .size:           4
        .value_kind:     by_value
      - .offset:         168
        .size:           4
        .value_kind:     by_value
      - .offset:         172
        .size:           4
        .value_kind:     by_value
      - .offset:         176
        .size:           4
        .value_kind:     by_value
      - .offset:         184
        .size:           4
        .value_kind:     hidden_block_count_x
      - .offset:         188
        .size:           4
        .value_kind:     hidden_block_count_y
      - .offset:         192
        .size:           4
        .value_kind:     hidden_block_count_z
      - .offset:         196
        .size:           2
        .value_kind:     hidden_group_size_x
      - .offset:         198
        .size:           2
        .value_kind:     hidden_group_size_y
      - .offset:         200
        .size:           2
        .value_kind:     hidden_group_size_z
      - .offset:         202
        .size:           2
        .value_kind:     hidden_remainder_x
      - .offset:         204
        .size:           2
        .value_kind:     hidden_remainder_y
      - .offset:         206
        .size:           2
        .value_kind:     hidden_remainder_z
      - .offset:         224
        .size:           8
        .value_kind:     hidden_global_offset_x
      - .offset:         232
        .size:           8
        .value_kind:     hidden_global_offset_y
      - .offset:         240
        .size:           8
        .value_kind:     hidden_global_offset_z
      - .offset:         248
        .size:           2
        .value_kind:     hidden_grid_dims
    .group_segment_fixed_size: 0
    .kernarg_segment_align: 8
    .kernarg_segment_size: 440
    .language:       OpenCL C
    .language_version:
      - 2
      - 0
    .max_flat_workgroup_size: 1024
    .name:           _ZN2at6native12_GLOBAL__N_143conv_depthwise3d_cuda_backward_input_kernelIffLi3ELi3ELi3ELi1ELi1ELi1ELi1ELi1ELi1EEEvN5torch10headeronly6detail27GenericPackedTensorAccessorINS5_14TensorAccessorIN3c108ArrayRefIlEEKT_Lm4ENS4_16DefaultPtrTraitsEiEENS_6detail16IndexBoundsCheckILm5EiEESC_Lm5ESD_iEENS6_INS7_ISA_SB_Lm4ESD_iEESH_SB_Lm5ESD_iEESI_iiiiiiiii
    .private_segment_fixed_size: 12
    .sgpr_count:     78
    .sgpr_spill_count: 0
    .symbol:         _ZN2at6native12_GLOBAL__N_143conv_depthwise3d_cuda_backward_input_kernelIffLi3ELi3ELi3ELi1ELi1ELi1ELi1ELi1ELi1EEEvN5torch10headeronly6detail27GenericPackedTensorAccessorINS5_14TensorAccessorIN3c108ArrayRefIlEEKT_Lm4ENS4_16DefaultPtrTraitsEiEENS_6detail16IndexBoundsCheckILm5EiEESC_Lm5ESD_iEENS6_INS7_ISA_SB_Lm4ESD_iEESH_SB_Lm5ESD_iEESI_iiiiiiiii.kd
    .uniform_work_group_size: 1
    .uses_dynamic_stack: false
    .vgpr_count:     128
    .vgpr_spill_count: 2
    .wavefront_size: 32
    .workgroup_processor_mode: 1
  - .args:
      - .offset:         0
        .size:           48
        .value_kind:     by_value
      - .offset:         48
        .size:           48
        .value_kind:     by_value
      - .offset:         96
        .size:           48
        .value_kind:     by_value
      - .offset:         144
        .size:           4
        .value_kind:     by_value
      - .offset:         148
        .size:           4
        .value_kind:     by_value
      - .offset:         152
        .size:           4
        .value_kind:     by_value
      - .offset:         156
        .size:           4
        .value_kind:     by_value
      - .offset:         160
        .size:           4
        .value_kind:     by_value
      - .offset:         164
        .size:           4
        .value_kind:     by_value
      - .offset:         168
        .size:           4
        .value_kind:     by_value
      - .offset:         172
        .size:           4
        .value_kind:     by_value
      - .offset:         176
        .size:           4
        .value_kind:     by_value
      - .offset:         184
        .size:           4
        .value_kind:     hidden_block_count_x
      - .offset:         188
        .size:           4
        .value_kind:     hidden_block_count_y
      - .offset:         192
        .size:           4
        .value_kind:     hidden_block_count_z
      - .offset:         196
        .size:           2
        .value_kind:     hidden_group_size_x
      - .offset:         198
        .size:           2
        .value_kind:     hidden_group_size_y
      - .offset:         200
        .size:           2
        .value_kind:     hidden_group_size_z
      - .offset:         202
        .size:           2
        .value_kind:     hidden_remainder_x
      - .offset:         204
        .size:           2
        .value_kind:     hidden_remainder_y
      - .offset:         206
        .size:           2
        .value_kind:     hidden_remainder_z
      - .offset:         224
        .size:           8
        .value_kind:     hidden_global_offset_x
      - .offset:         232
        .size:           8
        .value_kind:     hidden_global_offset_y
      - .offset:         240
        .size:           8
        .value_kind:     hidden_global_offset_z
      - .offset:         248
        .size:           2
        .value_kind:     hidden_grid_dims
    .group_segment_fixed_size: 0
    .kernarg_segment_align: 8
    .kernarg_segment_size: 440
    .language:       OpenCL C
    .language_version:
      - 2
      - 0
    .max_flat_workgroup_size: 1024
    .name:           _ZN2at6native12_GLOBAL__N_143conv_depthwise3d_cuda_backward_input_kernelIffLi3ELi3ELi3ELi1ELi1ELi1ELin1ELin1ELin1EEEvN5torch10headeronly6detail27GenericPackedTensorAccessorINS5_14TensorAccessorIN3c108ArrayRefIlEEKT_Lm4ENS4_16DefaultPtrTraitsEiEENS_6detail16IndexBoundsCheckILm5EiEESC_Lm5ESD_iEENS6_INS7_ISA_SB_Lm4ESD_iEESH_SB_Lm5ESD_iEESI_iiiiiiiii
    .private_segment_fixed_size: 24
    .sgpr_count:     107
    .sgpr_spill_count: 10
    .symbol:         _ZN2at6native12_GLOBAL__N_143conv_depthwise3d_cuda_backward_input_kernelIffLi3ELi3ELi3ELi1ELi1ELi1ELin1ELin1ELin1EEEvN5torch10headeronly6detail27GenericPackedTensorAccessorINS5_14TensorAccessorIN3c108ArrayRefIlEEKT_Lm4ENS4_16DefaultPtrTraitsEiEENS_6detail16IndexBoundsCheckILm5EiEESC_Lm5ESD_iEENS6_INS7_ISA_SB_Lm4ESD_iEESH_SB_Lm5ESD_iEESI_iiiiiiiii.kd
    .uniform_work_group_size: 1
    .uses_dynamic_stack: false
    .vgpr_count:     128
    .vgpr_spill_count: 5
    .wavefront_size: 32
    .workgroup_processor_mode: 1
  - .args:
      - .offset:         0
        .size:           48
        .value_kind:     by_value
      - .offset:         48
        .size:           48
        .value_kind:     by_value
      - .offset:         96
        .size:           48
        .value_kind:     by_value
      - .offset:         144
        .size:           4
        .value_kind:     by_value
      - .offset:         148
        .size:           4
        .value_kind:     by_value
      - .offset:         152
        .size:           4
        .value_kind:     by_value
      - .offset:         156
        .size:           4
        .value_kind:     by_value
      - .offset:         160
        .size:           4
        .value_kind:     by_value
      - .offset:         164
        .size:           4
        .value_kind:     by_value
      - .offset:         168
        .size:           4
        .value_kind:     by_value
      - .offset:         172
        .size:           4
        .value_kind:     by_value
      - .offset:         176
        .size:           4
        .value_kind:     by_value
      - .offset:         184
        .size:           4
        .value_kind:     hidden_block_count_x
      - .offset:         188
        .size:           4
        .value_kind:     hidden_block_count_y
      - .offset:         192
        .size:           4
        .value_kind:     hidden_block_count_z
      - .offset:         196
        .size:           2
        .value_kind:     hidden_group_size_x
      - .offset:         198
        .size:           2
        .value_kind:     hidden_group_size_y
      - .offset:         200
        .size:           2
        .value_kind:     hidden_group_size_z
      - .offset:         202
        .size:           2
        .value_kind:     hidden_remainder_x
      - .offset:         204
        .size:           2
        .value_kind:     hidden_remainder_y
      - .offset:         206
        .size:           2
        .value_kind:     hidden_remainder_z
      - .offset:         224
        .size:           8
        .value_kind:     hidden_global_offset_x
      - .offset:         232
        .size:           8
        .value_kind:     hidden_global_offset_y
      - .offset:         240
        .size:           8
        .value_kind:     hidden_global_offset_z
      - .offset:         248
        .size:           2
        .value_kind:     hidden_grid_dims
    .group_segment_fixed_size: 0
    .kernarg_segment_align: 8
    .kernarg_segment_size: 440
    .language:       OpenCL C
    .language_version:
      - 2
      - 0
    .max_flat_workgroup_size: 1024
    .name:           _ZN2at6native12_GLOBAL__N_143conv_depthwise3d_cuda_backward_input_kernelIffLi3ELi3ELi3ELin1ELin1ELin1ELi1ELi1ELi1EEEvN5torch10headeronly6detail27GenericPackedTensorAccessorINS5_14TensorAccessorIN3c108ArrayRefIlEEKT_Lm4ENS4_16DefaultPtrTraitsEiEENS_6detail16IndexBoundsCheckILm5EiEESC_Lm5ESD_iEENS6_INS7_ISA_SB_Lm4ESD_iEESH_SB_Lm5ESD_iEESI_iiiiiiiii
    .private_segment_fixed_size: 12
    .sgpr_count:     86
    .sgpr_spill_count: 0
    .symbol:         _ZN2at6native12_GLOBAL__N_143conv_depthwise3d_cuda_backward_input_kernelIffLi3ELi3ELi3ELin1ELin1ELin1ELi1ELi1ELi1EEEvN5torch10headeronly6detail27GenericPackedTensorAccessorINS5_14TensorAccessorIN3c108ArrayRefIlEEKT_Lm4ENS4_16DefaultPtrTraitsEiEENS_6detail16IndexBoundsCheckILm5EiEESC_Lm5ESD_iEENS6_INS7_ISA_SB_Lm4ESD_iEESH_SB_Lm5ESD_iEESI_iiiiiiiii.kd
    .uniform_work_group_size: 1
    .uses_dynamic_stack: false
    .vgpr_count:     128
    .vgpr_spill_count: 2
    .wavefront_size: 32
    .workgroup_processor_mode: 1
  - .args:
      - .offset:         0
        .size:           48
        .value_kind:     by_value
      - .offset:         48
        .size:           48
        .value_kind:     by_value
      - .offset:         96
        .size:           48
        .value_kind:     by_value
      - .offset:         144
        .size:           4
        .value_kind:     by_value
      - .offset:         148
        .size:           4
        .value_kind:     by_value
      - .offset:         152
        .size:           4
        .value_kind:     by_value
      - .offset:         156
        .size:           4
        .value_kind:     by_value
      - .offset:         160
        .size:           4
        .value_kind:     by_value
      - .offset:         164
        .size:           4
        .value_kind:     by_value
      - .offset:         168
        .size:           4
        .value_kind:     by_value
      - .offset:         172
        .size:           4
        .value_kind:     by_value
      - .offset:         176
        .size:           4
        .value_kind:     by_value
      - .offset:         184
        .size:           4
        .value_kind:     hidden_block_count_x
      - .offset:         188
        .size:           4
        .value_kind:     hidden_block_count_y
      - .offset:         192
        .size:           4
        .value_kind:     hidden_block_count_z
      - .offset:         196
        .size:           2
        .value_kind:     hidden_group_size_x
      - .offset:         198
        .size:           2
        .value_kind:     hidden_group_size_y
      - .offset:         200
        .size:           2
        .value_kind:     hidden_group_size_z
      - .offset:         202
        .size:           2
        .value_kind:     hidden_remainder_x
      - .offset:         204
        .size:           2
        .value_kind:     hidden_remainder_y
      - .offset:         206
        .size:           2
        .value_kind:     hidden_remainder_z
      - .offset:         224
        .size:           8
        .value_kind:     hidden_global_offset_x
      - .offset:         232
        .size:           8
        .value_kind:     hidden_global_offset_y
      - .offset:         240
        .size:           8
        .value_kind:     hidden_global_offset_z
      - .offset:         248
        .size:           2
        .value_kind:     hidden_grid_dims
    .group_segment_fixed_size: 0
    .kernarg_segment_align: 8
    .kernarg_segment_size: 440
    .language:       OpenCL C
    .language_version:
      - 2
      - 0
    .max_flat_workgroup_size: 1024
    .name:           _ZN2at6native12_GLOBAL__N_143conv_depthwise3d_cuda_backward_input_kernelIffLi3ELi3ELi3ELin1ELin1ELin1ELin1ELin1ELin1EEEvN5torch10headeronly6detail27GenericPackedTensorAccessorINS5_14TensorAccessorIN3c108ArrayRefIlEEKT_Lm4ENS4_16DefaultPtrTraitsEiEENS_6detail16IndexBoundsCheckILm5EiEESC_Lm5ESD_iEENS6_INS7_ISA_SB_Lm4ESD_iEESH_SB_Lm5ESD_iEESI_iiiiiiiii
    .private_segment_fixed_size: 24
    .sgpr_count:     107
    .sgpr_spill_count: 15
    .symbol:         _ZN2at6native12_GLOBAL__N_143conv_depthwise3d_cuda_backward_input_kernelIffLi3ELi3ELi3ELin1ELin1ELin1ELin1ELin1ELin1EEEvN5torch10headeronly6detail27GenericPackedTensorAccessorINS5_14TensorAccessorIN3c108ArrayRefIlEEKT_Lm4ENS4_16DefaultPtrTraitsEiEENS_6detail16IndexBoundsCheckILm5EiEESC_Lm5ESD_iEENS6_INS7_ISA_SB_Lm4ESD_iEESH_SB_Lm5ESD_iEESI_iiiiiiiii.kd
    .uniform_work_group_size: 1
    .uses_dynamic_stack: false
    .vgpr_count:     128
    .vgpr_spill_count: 5
    .wavefront_size: 32
    .workgroup_processor_mode: 1
  - .args:
      - .offset:         0
        .size:           48
        .value_kind:     by_value
      - .offset:         48
        .size:           48
        .value_kind:     by_value
      - .offset:         96
        .size:           48
        .value_kind:     by_value
      - .offset:         144
        .size:           4
        .value_kind:     by_value
      - .offset:         148
        .size:           4
        .value_kind:     by_value
      - .offset:         152
        .size:           4
        .value_kind:     by_value
      - .offset:         156
        .size:           4
        .value_kind:     by_value
      - .offset:         160
        .size:           4
        .value_kind:     by_value
      - .offset:         164
        .size:           4
        .value_kind:     by_value
      - .offset:         168
        .size:           4
        .value_kind:     by_value
      - .offset:         172
        .size:           4
        .value_kind:     by_value
      - .offset:         176
        .size:           4
        .value_kind:     by_value
      - .offset:         184
        .size:           4
        .value_kind:     hidden_block_count_x
      - .offset:         188
        .size:           4
        .value_kind:     hidden_block_count_y
      - .offset:         192
        .size:           4
        .value_kind:     hidden_block_count_z
      - .offset:         196
        .size:           2
        .value_kind:     hidden_group_size_x
      - .offset:         198
        .size:           2
        .value_kind:     hidden_group_size_y
      - .offset:         200
        .size:           2
        .value_kind:     hidden_group_size_z
      - .offset:         202
        .size:           2
        .value_kind:     hidden_remainder_x
      - .offset:         204
        .size:           2
        .value_kind:     hidden_remainder_y
      - .offset:         206
        .size:           2
        .value_kind:     hidden_remainder_z
      - .offset:         224
        .size:           8
        .value_kind:     hidden_global_offset_x
      - .offset:         232
        .size:           8
        .value_kind:     hidden_global_offset_y
      - .offset:         240
        .size:           8
        .value_kind:     hidden_global_offset_z
      - .offset:         248
        .size:           2
        .value_kind:     hidden_grid_dims
    .group_segment_fixed_size: 0
    .kernarg_segment_align: 8
    .kernarg_segment_size: 440
    .language:       OpenCL C
    .language_version:
      - 2
      - 0
    .max_flat_workgroup_size: 1024
    .name:           _ZN2at6native12_GLOBAL__N_143conv_depthwise3d_cuda_backward_input_kernelIffLin1ELin1ELin1ELin1ELin1ELin1ELin1ELin1ELin1EEEvN5torch10headeronly6detail27GenericPackedTensorAccessorINS5_14TensorAccessorIN3c108ArrayRefIlEEKT_Lm4ENS4_16DefaultPtrTraitsEiEENS_6detail16IndexBoundsCheckILm5EiEESC_Lm5ESD_iEENS6_INS7_ISA_SB_Lm4ESD_iEESH_SB_Lm5ESD_iEESI_iiiiiiiii
    .private_segment_fixed_size: 0
    .sgpr_count:     70
    .sgpr_spill_count: 0
    .symbol:         _ZN2at6native12_GLOBAL__N_143conv_depthwise3d_cuda_backward_input_kernelIffLin1ELin1ELin1ELin1ELin1ELin1ELin1ELin1ELin1EEEvN5torch10headeronly6detail27GenericPackedTensorAccessorINS5_14TensorAccessorIN3c108ArrayRefIlEEKT_Lm4ENS4_16DefaultPtrTraitsEiEENS_6detail16IndexBoundsCheckILm5EiEESC_Lm5ESD_iEENS6_INS7_ISA_SB_Lm4ESD_iEESH_SB_Lm5ESD_iEESI_iiiiiiiii.kd
    .uniform_work_group_size: 1
    .uses_dynamic_stack: false
    .vgpr_count:     34
    .vgpr_spill_count: 0
    .wavefront_size: 32
    .workgroup_processor_mode: 1
  - .args:
      - .offset:         0
        .size:           48
        .value_kind:     by_value
      - .offset:         48
        .size:           48
        .value_kind:     by_value
      - .offset:         96
        .size:           48
        .value_kind:     by_value
      - .offset:         144
        .size:           4
        .value_kind:     by_value
      - .offset:         148
        .size:           4
        .value_kind:     by_value
      - .offset:         152
        .size:           4
        .value_kind:     by_value
      - .offset:         156
        .size:           4
        .value_kind:     by_value
      - .offset:         160
        .size:           4
        .value_kind:     by_value
      - .offset:         164
        .size:           4
        .value_kind:     by_value
      - .offset:         168
        .size:           4
        .value_kind:     by_value
      - .offset:         172
        .size:           4
        .value_kind:     by_value
      - .offset:         176
        .size:           4
        .value_kind:     by_value
      - .offset:         184
        .size:           4
        .value_kind:     hidden_block_count_x
      - .offset:         188
        .size:           4
        .value_kind:     hidden_block_count_y
      - .offset:         192
        .size:           4
        .value_kind:     hidden_block_count_z
      - .offset:         196
        .size:           2
        .value_kind:     hidden_group_size_x
      - .offset:         198
        .size:           2
        .value_kind:     hidden_group_size_y
      - .offset:         200
        .size:           2
        .value_kind:     hidden_group_size_z
      - .offset:         202
        .size:           2
        .value_kind:     hidden_remainder_x
      - .offset:         204
        .size:           2
        .value_kind:     hidden_remainder_y
      - .offset:         206
        .size:           2
        .value_kind:     hidden_remainder_z
      - .offset:         224
        .size:           8
        .value_kind:     hidden_global_offset_x
      - .offset:         232
        .size:           8
        .value_kind:     hidden_global_offset_y
      - .offset:         240
        .size:           8
        .value_kind:     hidden_global_offset_z
      - .offset:         248
        .size:           2
        .value_kind:     hidden_grid_dims
    .group_segment_fixed_size: 0
    .kernarg_segment_align: 8
    .kernarg_segment_size: 440
    .language:       OpenCL C
    .language_version:
      - 2
      - 0
    .max_flat_workgroup_size: 1024
    .name:           _ZN2at6native12_GLOBAL__N_143conv_depthwise3d_cuda_backward_input_kernelIN3c104HalfEfLi3ELi3ELi3ELi1ELi1ELi1ELi1ELi1ELi1EEEvN5torch10headeronly6detail27GenericPackedTensorAccessorINS7_14TensorAccessorINS3_8ArrayRefIlEEKT_Lm4ENS6_16DefaultPtrTraitsEiEENS_6detail16IndexBoundsCheckILm5EiEESD_Lm5ESE_iEENS8_INS9_ISB_SC_Lm4ESE_iEESI_SC_Lm5ESE_iEESJ_iiiiiiiii
    .private_segment_fixed_size: 12
    .sgpr_count:     78
    .sgpr_spill_count: 0
    .symbol:         _ZN2at6native12_GLOBAL__N_143conv_depthwise3d_cuda_backward_input_kernelIN3c104HalfEfLi3ELi3ELi3ELi1ELi1ELi1ELi1ELi1ELi1EEEvN5torch10headeronly6detail27GenericPackedTensorAccessorINS7_14TensorAccessorINS3_8ArrayRefIlEEKT_Lm4ENS6_16DefaultPtrTraitsEiEENS_6detail16IndexBoundsCheckILm5EiEESD_Lm5ESE_iEENS8_INS9_ISB_SC_Lm4ESE_iEESI_SC_Lm5ESE_iEESJ_iiiiiiiii.kd
    .uniform_work_group_size: 1
    .uses_dynamic_stack: false
    .vgpr_count:     128
    .vgpr_spill_count: 2
    .wavefront_size: 32
    .workgroup_processor_mode: 1
  - .args:
      - .offset:         0
        .size:           48
        .value_kind:     by_value
      - .offset:         48
        .size:           48
        .value_kind:     by_value
      - .offset:         96
        .size:           48
        .value_kind:     by_value
      - .offset:         144
        .size:           4
        .value_kind:     by_value
      - .offset:         148
        .size:           4
        .value_kind:     by_value
      - .offset:         152
        .size:           4
        .value_kind:     by_value
      - .offset:         156
        .size:           4
        .value_kind:     by_value
      - .offset:         160
        .size:           4
        .value_kind:     by_value
      - .offset:         164
        .size:           4
        .value_kind:     by_value
      - .offset:         168
        .size:           4
        .value_kind:     by_value
      - .offset:         172
        .size:           4
        .value_kind:     by_value
      - .offset:         176
        .size:           4
        .value_kind:     by_value
      - .offset:         184
        .size:           4
        .value_kind:     hidden_block_count_x
      - .offset:         188
        .size:           4
        .value_kind:     hidden_block_count_y
      - .offset:         192
        .size:           4
        .value_kind:     hidden_block_count_z
      - .offset:         196
        .size:           2
        .value_kind:     hidden_group_size_x
      - .offset:         198
        .size:           2
        .value_kind:     hidden_group_size_y
      - .offset:         200
        .size:           2
        .value_kind:     hidden_group_size_z
      - .offset:         202
        .size:           2
        .value_kind:     hidden_remainder_x
      - .offset:         204
        .size:           2
        .value_kind:     hidden_remainder_y
      - .offset:         206
        .size:           2
        .value_kind:     hidden_remainder_z
      - .offset:         224
        .size:           8
        .value_kind:     hidden_global_offset_x
      - .offset:         232
        .size:           8
        .value_kind:     hidden_global_offset_y
      - .offset:         240
        .size:           8
        .value_kind:     hidden_global_offset_z
      - .offset:         248
        .size:           2
        .value_kind:     hidden_grid_dims
    .group_segment_fixed_size: 0
    .kernarg_segment_align: 8
    .kernarg_segment_size: 440
    .language:       OpenCL C
    .language_version:
      - 2
      - 0
    .max_flat_workgroup_size: 1024
    .name:           _ZN2at6native12_GLOBAL__N_143conv_depthwise3d_cuda_backward_input_kernelIN3c104HalfEfLi3ELi3ELi3ELi1ELi1ELi1ELin1ELin1ELin1EEEvN5torch10headeronly6detail27GenericPackedTensorAccessorINS7_14TensorAccessorINS3_8ArrayRefIlEEKT_Lm4ENS6_16DefaultPtrTraitsEiEENS_6detail16IndexBoundsCheckILm5EiEESD_Lm5ESE_iEENS8_INS9_ISB_SC_Lm4ESE_iEESI_SC_Lm5ESE_iEESJ_iiiiiiiii
    .private_segment_fixed_size: 24
    .sgpr_count:     107
    .sgpr_spill_count: 10
    .symbol:         _ZN2at6native12_GLOBAL__N_143conv_depthwise3d_cuda_backward_input_kernelIN3c104HalfEfLi3ELi3ELi3ELi1ELi1ELi1ELin1ELin1ELin1EEEvN5torch10headeronly6detail27GenericPackedTensorAccessorINS7_14TensorAccessorINS3_8ArrayRefIlEEKT_Lm4ENS6_16DefaultPtrTraitsEiEENS_6detail16IndexBoundsCheckILm5EiEESD_Lm5ESE_iEENS8_INS9_ISB_SC_Lm4ESE_iEESI_SC_Lm5ESE_iEESJ_iiiiiiiii.kd
    .uniform_work_group_size: 1
    .uses_dynamic_stack: false
    .vgpr_count:     128
    .vgpr_spill_count: 5
    .wavefront_size: 32
    .workgroup_processor_mode: 1
  - .args:
      - .offset:         0
        .size:           48
        .value_kind:     by_value
      - .offset:         48
        .size:           48
        .value_kind:     by_value
      - .offset:         96
        .size:           48
        .value_kind:     by_value
      - .offset:         144
        .size:           4
        .value_kind:     by_value
      - .offset:         148
        .size:           4
        .value_kind:     by_value
      - .offset:         152
        .size:           4
        .value_kind:     by_value
      - .offset:         156
        .size:           4
        .value_kind:     by_value
      - .offset:         160
        .size:           4
        .value_kind:     by_value
      - .offset:         164
        .size:           4
        .value_kind:     by_value
      - .offset:         168
        .size:           4
        .value_kind:     by_value
      - .offset:         172
        .size:           4
        .value_kind:     by_value
      - .offset:         176
        .size:           4
        .value_kind:     by_value
      - .offset:         184
        .size:           4
        .value_kind:     hidden_block_count_x
      - .offset:         188
        .size:           4
        .value_kind:     hidden_block_count_y
      - .offset:         192
        .size:           4
        .value_kind:     hidden_block_count_z
      - .offset:         196
        .size:           2
        .value_kind:     hidden_group_size_x
      - .offset:         198
        .size:           2
        .value_kind:     hidden_group_size_y
      - .offset:         200
        .size:           2
        .value_kind:     hidden_group_size_z
      - .offset:         202
        .size:           2
        .value_kind:     hidden_remainder_x
      - .offset:         204
        .size:           2
        .value_kind:     hidden_remainder_y
      - .offset:         206
        .size:           2
        .value_kind:     hidden_remainder_z
      - .offset:         224
        .size:           8
        .value_kind:     hidden_global_offset_x
      - .offset:         232
        .size:           8
        .value_kind:     hidden_global_offset_y
      - .offset:         240
        .size:           8
        .value_kind:     hidden_global_offset_z
      - .offset:         248
        .size:           2
        .value_kind:     hidden_grid_dims
    .group_segment_fixed_size: 0
    .kernarg_segment_align: 8
    .kernarg_segment_size: 440
    .language:       OpenCL C
    .language_version:
      - 2
      - 0
    .max_flat_workgroup_size: 1024
    .name:           _ZN2at6native12_GLOBAL__N_143conv_depthwise3d_cuda_backward_input_kernelIN3c104HalfEfLi3ELi3ELi3ELin1ELin1ELin1ELi1ELi1ELi1EEEvN5torch10headeronly6detail27GenericPackedTensorAccessorINS7_14TensorAccessorINS3_8ArrayRefIlEEKT_Lm4ENS6_16DefaultPtrTraitsEiEENS_6detail16IndexBoundsCheckILm5EiEESD_Lm5ESE_iEENS8_INS9_ISB_SC_Lm4ESE_iEESI_SC_Lm5ESE_iEESJ_iiiiiiiii
    .private_segment_fixed_size: 12
    .sgpr_count:     86
    .sgpr_spill_count: 0
    .symbol:         _ZN2at6native12_GLOBAL__N_143conv_depthwise3d_cuda_backward_input_kernelIN3c104HalfEfLi3ELi3ELi3ELin1ELin1ELin1ELi1ELi1ELi1EEEvN5torch10headeronly6detail27GenericPackedTensorAccessorINS7_14TensorAccessorINS3_8ArrayRefIlEEKT_Lm4ENS6_16DefaultPtrTraitsEiEENS_6detail16IndexBoundsCheckILm5EiEESD_Lm5ESE_iEENS8_INS9_ISB_SC_Lm4ESE_iEESI_SC_Lm5ESE_iEESJ_iiiiiiiii.kd
    .uniform_work_group_size: 1
    .uses_dynamic_stack: false
    .vgpr_count:     128
    .vgpr_spill_count: 2
    .wavefront_size: 32
    .workgroup_processor_mode: 1
  - .args:
      - .offset:         0
        .size:           48
        .value_kind:     by_value
      - .offset:         48
        .size:           48
        .value_kind:     by_value
      - .offset:         96
        .size:           48
        .value_kind:     by_value
      - .offset:         144
        .size:           4
        .value_kind:     by_value
      - .offset:         148
        .size:           4
        .value_kind:     by_value
      - .offset:         152
        .size:           4
        .value_kind:     by_value
      - .offset:         156
        .size:           4
        .value_kind:     by_value
      - .offset:         160
        .size:           4
        .value_kind:     by_value
      - .offset:         164
        .size:           4
        .value_kind:     by_value
      - .offset:         168
        .size:           4
        .value_kind:     by_value
      - .offset:         172
        .size:           4
        .value_kind:     by_value
      - .offset:         176
        .size:           4
        .value_kind:     by_value
      - .offset:         184
        .size:           4
        .value_kind:     hidden_block_count_x
      - .offset:         188
        .size:           4
        .value_kind:     hidden_block_count_y
      - .offset:         192
        .size:           4
        .value_kind:     hidden_block_count_z
      - .offset:         196
        .size:           2
        .value_kind:     hidden_group_size_x
      - .offset:         198
        .size:           2
        .value_kind:     hidden_group_size_y
      - .offset:         200
        .size:           2
        .value_kind:     hidden_group_size_z
      - .offset:         202
        .size:           2
        .value_kind:     hidden_remainder_x
      - .offset:         204
        .size:           2
        .value_kind:     hidden_remainder_y
      - .offset:         206
        .size:           2
        .value_kind:     hidden_remainder_z
      - .offset:         224
        .size:           8
        .value_kind:     hidden_global_offset_x
      - .offset:         232
        .size:           8
        .value_kind:     hidden_global_offset_y
      - .offset:         240
        .size:           8
        .value_kind:     hidden_global_offset_z
      - .offset:         248
        .size:           2
        .value_kind:     hidden_grid_dims
    .group_segment_fixed_size: 0
    .kernarg_segment_align: 8
    .kernarg_segment_size: 440
    .language:       OpenCL C
    .language_version:
      - 2
      - 0
    .max_flat_workgroup_size: 1024
    .name:           _ZN2at6native12_GLOBAL__N_143conv_depthwise3d_cuda_backward_input_kernelIN3c104HalfEfLi3ELi3ELi3ELin1ELin1ELin1ELin1ELin1ELin1EEEvN5torch10headeronly6detail27GenericPackedTensorAccessorINS7_14TensorAccessorINS3_8ArrayRefIlEEKT_Lm4ENS6_16DefaultPtrTraitsEiEENS_6detail16IndexBoundsCheckILm5EiEESD_Lm5ESE_iEENS8_INS9_ISB_SC_Lm4ESE_iEESI_SC_Lm5ESE_iEESJ_iiiiiiiii
    .private_segment_fixed_size: 24
    .sgpr_count:     107
    .sgpr_spill_count: 15
    .symbol:         _ZN2at6native12_GLOBAL__N_143conv_depthwise3d_cuda_backward_input_kernelIN3c104HalfEfLi3ELi3ELi3ELin1ELin1ELin1ELin1ELin1ELin1EEEvN5torch10headeronly6detail27GenericPackedTensorAccessorINS7_14TensorAccessorINS3_8ArrayRefIlEEKT_Lm4ENS6_16DefaultPtrTraitsEiEENS_6detail16IndexBoundsCheckILm5EiEESD_Lm5ESE_iEENS8_INS9_ISB_SC_Lm4ESE_iEESI_SC_Lm5ESE_iEESJ_iiiiiiiii.kd
    .uniform_work_group_size: 1
    .uses_dynamic_stack: false
    .vgpr_count:     128
    .vgpr_spill_count: 5
    .wavefront_size: 32
    .workgroup_processor_mode: 1
  - .args:
      - .offset:         0
        .size:           48
        .value_kind:     by_value
      - .offset:         48
        .size:           48
        .value_kind:     by_value
      - .offset:         96
        .size:           48
        .value_kind:     by_value
      - .offset:         144
        .size:           4
        .value_kind:     by_value
      - .offset:         148
        .size:           4
        .value_kind:     by_value
      - .offset:         152
        .size:           4
        .value_kind:     by_value
      - .offset:         156
        .size:           4
        .value_kind:     by_value
      - .offset:         160
        .size:           4
        .value_kind:     by_value
      - .offset:         164
        .size:           4
        .value_kind:     by_value
      - .offset:         168
        .size:           4
        .value_kind:     by_value
      - .offset:         172
        .size:           4
        .value_kind:     by_value
      - .offset:         176
        .size:           4
        .value_kind:     by_value
      - .offset:         184
        .size:           4
        .value_kind:     hidden_block_count_x
      - .offset:         188
        .size:           4
        .value_kind:     hidden_block_count_y
      - .offset:         192
        .size:           4
        .value_kind:     hidden_block_count_z
      - .offset:         196
        .size:           2
        .value_kind:     hidden_group_size_x
      - .offset:         198
        .size:           2
        .value_kind:     hidden_group_size_y
      - .offset:         200
        .size:           2
        .value_kind:     hidden_group_size_z
      - .offset:         202
        .size:           2
        .value_kind:     hidden_remainder_x
      - .offset:         204
        .size:           2
        .value_kind:     hidden_remainder_y
      - .offset:         206
        .size:           2
        .value_kind:     hidden_remainder_z
      - .offset:         224
        .size:           8
        .value_kind:     hidden_global_offset_x
      - .offset:         232
        .size:           8
        .value_kind:     hidden_global_offset_y
      - .offset:         240
        .size:           8
        .value_kind:     hidden_global_offset_z
      - .offset:         248
        .size:           2
        .value_kind:     hidden_grid_dims
    .group_segment_fixed_size: 0
    .kernarg_segment_align: 8
    .kernarg_segment_size: 440
    .language:       OpenCL C
    .language_version:
      - 2
      - 0
    .max_flat_workgroup_size: 1024
    .name:           _ZN2at6native12_GLOBAL__N_143conv_depthwise3d_cuda_backward_input_kernelIN3c104HalfEfLin1ELin1ELin1ELin1ELin1ELin1ELin1ELin1ELin1EEEvN5torch10headeronly6detail27GenericPackedTensorAccessorINS7_14TensorAccessorINS3_8ArrayRefIlEEKT_Lm4ENS6_16DefaultPtrTraitsEiEENS_6detail16IndexBoundsCheckILm5EiEESD_Lm5ESE_iEENS8_INS9_ISB_SC_Lm4ESE_iEESI_SC_Lm5ESE_iEESJ_iiiiiiiii
    .private_segment_fixed_size: 0
    .sgpr_count:     70
    .sgpr_spill_count: 0
    .symbol:         _ZN2at6native12_GLOBAL__N_143conv_depthwise3d_cuda_backward_input_kernelIN3c104HalfEfLin1ELin1ELin1ELin1ELin1ELin1ELin1ELin1ELin1EEEvN5torch10headeronly6detail27GenericPackedTensorAccessorINS7_14TensorAccessorINS3_8ArrayRefIlEEKT_Lm4ENS6_16DefaultPtrTraitsEiEENS_6detail16IndexBoundsCheckILm5EiEESD_Lm5ESE_iEENS8_INS9_ISB_SC_Lm4ESE_iEESI_SC_Lm5ESE_iEESJ_iiiiiiiii.kd
    .uniform_work_group_size: 1
    .uses_dynamic_stack: false
    .vgpr_count:     34
    .vgpr_spill_count: 0
    .wavefront_size: 32
    .workgroup_processor_mode: 1
  - .args:
      - .offset:         0
        .size:           48
        .value_kind:     by_value
      - .offset:         48
        .size:           48
        .value_kind:     by_value
      - .offset:         96
        .size:           48
        .value_kind:     by_value
      - .offset:         144
        .size:           4
        .value_kind:     by_value
      - .offset:         148
        .size:           4
        .value_kind:     by_value
      - .offset:         152
        .size:           4
        .value_kind:     by_value
      - .offset:         156
        .size:           4
        .value_kind:     by_value
      - .offset:         160
        .size:           4
        .value_kind:     by_value
      - .offset:         164
        .size:           4
        .value_kind:     by_value
      - .offset:         168
        .size:           4
        .value_kind:     by_value
      - .offset:         172
        .size:           4
        .value_kind:     by_value
      - .offset:         176
        .size:           4
        .value_kind:     by_value
      - .offset:         184
        .size:           4
        .value_kind:     hidden_block_count_x
      - .offset:         188
        .size:           4
        .value_kind:     hidden_block_count_y
      - .offset:         192
        .size:           4
        .value_kind:     hidden_block_count_z
      - .offset:         196
        .size:           2
        .value_kind:     hidden_group_size_x
      - .offset:         198
        .size:           2
        .value_kind:     hidden_group_size_y
      - .offset:         200
        .size:           2
        .value_kind:     hidden_group_size_z
      - .offset:         202
        .size:           2
        .value_kind:     hidden_remainder_x
      - .offset:         204
        .size:           2
        .value_kind:     hidden_remainder_y
      - .offset:         206
        .size:           2
        .value_kind:     hidden_remainder_z
      - .offset:         224
        .size:           8
        .value_kind:     hidden_global_offset_x
      - .offset:         232
        .size:           8
        .value_kind:     hidden_global_offset_y
      - .offset:         240
        .size:           8
        .value_kind:     hidden_global_offset_z
      - .offset:         248
        .size:           2
        .value_kind:     hidden_grid_dims
    .group_segment_fixed_size: 0
    .kernarg_segment_align: 8
    .kernarg_segment_size: 440
    .language:       OpenCL C
    .language_version:
      - 2
      - 0
    .max_flat_workgroup_size: 1024
    .name:           _ZN2at6native12_GLOBAL__N_143conv_depthwise3d_cuda_backward_input_kernelIN3c108BFloat16EfLi3ELi3ELi3ELi1ELi1ELi1ELi1ELi1ELi1EEEvN5torch10headeronly6detail27GenericPackedTensorAccessorINS7_14TensorAccessorINS3_8ArrayRefIlEEKT_Lm4ENS6_16DefaultPtrTraitsEiEENS_6detail16IndexBoundsCheckILm5EiEESD_Lm5ESE_iEENS8_INS9_ISB_SC_Lm4ESE_iEESI_SC_Lm5ESE_iEESJ_iiiiiiiii
    .private_segment_fixed_size: 12
    .sgpr_count:     78
    .sgpr_spill_count: 0
    .symbol:         _ZN2at6native12_GLOBAL__N_143conv_depthwise3d_cuda_backward_input_kernelIN3c108BFloat16EfLi3ELi3ELi3ELi1ELi1ELi1ELi1ELi1ELi1EEEvN5torch10headeronly6detail27GenericPackedTensorAccessorINS7_14TensorAccessorINS3_8ArrayRefIlEEKT_Lm4ENS6_16DefaultPtrTraitsEiEENS_6detail16IndexBoundsCheckILm5EiEESD_Lm5ESE_iEENS8_INS9_ISB_SC_Lm4ESE_iEESI_SC_Lm5ESE_iEESJ_iiiiiiiii.kd
    .uniform_work_group_size: 1
    .uses_dynamic_stack: false
    .vgpr_count:     128
    .vgpr_spill_count: 2
    .wavefront_size: 32
    .workgroup_processor_mode: 1
  - .args:
      - .offset:         0
        .size:           48
        .value_kind:     by_value
      - .offset:         48
        .size:           48
        .value_kind:     by_value
      - .offset:         96
        .size:           48
        .value_kind:     by_value
      - .offset:         144
        .size:           4
        .value_kind:     by_value
      - .offset:         148
        .size:           4
        .value_kind:     by_value
      - .offset:         152
        .size:           4
        .value_kind:     by_value
      - .offset:         156
        .size:           4
        .value_kind:     by_value
      - .offset:         160
        .size:           4
        .value_kind:     by_value
      - .offset:         164
        .size:           4
        .value_kind:     by_value
      - .offset:         168
        .size:           4
        .value_kind:     by_value
      - .offset:         172
        .size:           4
        .value_kind:     by_value
      - .offset:         176
        .size:           4
        .value_kind:     by_value
      - .offset:         184
        .size:           4
        .value_kind:     hidden_block_count_x
      - .offset:         188
        .size:           4
        .value_kind:     hidden_block_count_y
      - .offset:         192
        .size:           4
        .value_kind:     hidden_block_count_z
      - .offset:         196
        .size:           2
        .value_kind:     hidden_group_size_x
      - .offset:         198
        .size:           2
        .value_kind:     hidden_group_size_y
      - .offset:         200
        .size:           2
        .value_kind:     hidden_group_size_z
      - .offset:         202
        .size:           2
        .value_kind:     hidden_remainder_x
      - .offset:         204
        .size:           2
        .value_kind:     hidden_remainder_y
      - .offset:         206
        .size:           2
        .value_kind:     hidden_remainder_z
      - .offset:         224
        .size:           8
        .value_kind:     hidden_global_offset_x
      - .offset:         232
        .size:           8
        .value_kind:     hidden_global_offset_y
      - .offset:         240
        .size:           8
        .value_kind:     hidden_global_offset_z
      - .offset:         248
        .size:           2
        .value_kind:     hidden_grid_dims
    .group_segment_fixed_size: 0
    .kernarg_segment_align: 8
    .kernarg_segment_size: 440
    .language:       OpenCL C
    .language_version:
      - 2
      - 0
    .max_flat_workgroup_size: 1024
    .name:           _ZN2at6native12_GLOBAL__N_143conv_depthwise3d_cuda_backward_input_kernelIN3c108BFloat16EfLi3ELi3ELi3ELi1ELi1ELi1ELin1ELin1ELin1EEEvN5torch10headeronly6detail27GenericPackedTensorAccessorINS7_14TensorAccessorINS3_8ArrayRefIlEEKT_Lm4ENS6_16DefaultPtrTraitsEiEENS_6detail16IndexBoundsCheckILm5EiEESD_Lm5ESE_iEENS8_INS9_ISB_SC_Lm4ESE_iEESI_SC_Lm5ESE_iEESJ_iiiiiiiii
    .private_segment_fixed_size: 24
    .sgpr_count:     107
    .sgpr_spill_count: 10
    .symbol:         _ZN2at6native12_GLOBAL__N_143conv_depthwise3d_cuda_backward_input_kernelIN3c108BFloat16EfLi3ELi3ELi3ELi1ELi1ELi1ELin1ELin1ELin1EEEvN5torch10headeronly6detail27GenericPackedTensorAccessorINS7_14TensorAccessorINS3_8ArrayRefIlEEKT_Lm4ENS6_16DefaultPtrTraitsEiEENS_6detail16IndexBoundsCheckILm5EiEESD_Lm5ESE_iEENS8_INS9_ISB_SC_Lm4ESE_iEESI_SC_Lm5ESE_iEESJ_iiiiiiiii.kd
    .uniform_work_group_size: 1
    .uses_dynamic_stack: false
    .vgpr_count:     128
    .vgpr_spill_count: 5
    .wavefront_size: 32
    .workgroup_processor_mode: 1
  - .args:
      - .offset:         0
        .size:           48
        .value_kind:     by_value
      - .offset:         48
        .size:           48
        .value_kind:     by_value
      - .offset:         96
        .size:           48
        .value_kind:     by_value
      - .offset:         144
        .size:           4
        .value_kind:     by_value
      - .offset:         148
        .size:           4
        .value_kind:     by_value
      - .offset:         152
        .size:           4
        .value_kind:     by_value
      - .offset:         156
        .size:           4
        .value_kind:     by_value
      - .offset:         160
        .size:           4
        .value_kind:     by_value
      - .offset:         164
        .size:           4
        .value_kind:     by_value
      - .offset:         168
        .size:           4
        .value_kind:     by_value
      - .offset:         172
        .size:           4
        .value_kind:     by_value
      - .offset:         176
        .size:           4
        .value_kind:     by_value
      - .offset:         184
        .size:           4
        .value_kind:     hidden_block_count_x
      - .offset:         188
        .size:           4
        .value_kind:     hidden_block_count_y
      - .offset:         192
        .size:           4
        .value_kind:     hidden_block_count_z
      - .offset:         196
        .size:           2
        .value_kind:     hidden_group_size_x
      - .offset:         198
        .size:           2
        .value_kind:     hidden_group_size_y
      - .offset:         200
        .size:           2
        .value_kind:     hidden_group_size_z
      - .offset:         202
        .size:           2
        .value_kind:     hidden_remainder_x
      - .offset:         204
        .size:           2
        .value_kind:     hidden_remainder_y
      - .offset:         206
        .size:           2
        .value_kind:     hidden_remainder_z
      - .offset:         224
        .size:           8
        .value_kind:     hidden_global_offset_x
      - .offset:         232
        .size:           8
        .value_kind:     hidden_global_offset_y
      - .offset:         240
        .size:           8
        .value_kind:     hidden_global_offset_z
      - .offset:         248
        .size:           2
        .value_kind:     hidden_grid_dims
    .group_segment_fixed_size: 0
    .kernarg_segment_align: 8
    .kernarg_segment_size: 440
    .language:       OpenCL C
    .language_version:
      - 2
      - 0
    .max_flat_workgroup_size: 1024
    .name:           _ZN2at6native12_GLOBAL__N_143conv_depthwise3d_cuda_backward_input_kernelIN3c108BFloat16EfLi3ELi3ELi3ELin1ELin1ELin1ELi1ELi1ELi1EEEvN5torch10headeronly6detail27GenericPackedTensorAccessorINS7_14TensorAccessorINS3_8ArrayRefIlEEKT_Lm4ENS6_16DefaultPtrTraitsEiEENS_6detail16IndexBoundsCheckILm5EiEESD_Lm5ESE_iEENS8_INS9_ISB_SC_Lm4ESE_iEESI_SC_Lm5ESE_iEESJ_iiiiiiiii
    .private_segment_fixed_size: 12
    .sgpr_count:     86
    .sgpr_spill_count: 0
    .symbol:         _ZN2at6native12_GLOBAL__N_143conv_depthwise3d_cuda_backward_input_kernelIN3c108BFloat16EfLi3ELi3ELi3ELin1ELin1ELin1ELi1ELi1ELi1EEEvN5torch10headeronly6detail27GenericPackedTensorAccessorINS7_14TensorAccessorINS3_8ArrayRefIlEEKT_Lm4ENS6_16DefaultPtrTraitsEiEENS_6detail16IndexBoundsCheckILm5EiEESD_Lm5ESE_iEENS8_INS9_ISB_SC_Lm4ESE_iEESI_SC_Lm5ESE_iEESJ_iiiiiiiii.kd
    .uniform_work_group_size: 1
    .uses_dynamic_stack: false
    .vgpr_count:     128
    .vgpr_spill_count: 2
    .wavefront_size: 32
    .workgroup_processor_mode: 1
  - .args:
      - .offset:         0
        .size:           48
        .value_kind:     by_value
      - .offset:         48
        .size:           48
        .value_kind:     by_value
      - .offset:         96
        .size:           48
        .value_kind:     by_value
      - .offset:         144
        .size:           4
        .value_kind:     by_value
      - .offset:         148
        .size:           4
        .value_kind:     by_value
      - .offset:         152
        .size:           4
        .value_kind:     by_value
      - .offset:         156
        .size:           4
        .value_kind:     by_value
      - .offset:         160
        .size:           4
        .value_kind:     by_value
      - .offset:         164
        .size:           4
        .value_kind:     by_value
      - .offset:         168
        .size:           4
        .value_kind:     by_value
      - .offset:         172
        .size:           4
        .value_kind:     by_value
      - .offset:         176
        .size:           4
        .value_kind:     by_value
      - .offset:         184
        .size:           4
        .value_kind:     hidden_block_count_x
      - .offset:         188
        .size:           4
        .value_kind:     hidden_block_count_y
      - .offset:         192
        .size:           4
        .value_kind:     hidden_block_count_z
      - .offset:         196
        .size:           2
        .value_kind:     hidden_group_size_x
      - .offset:         198
        .size:           2
        .value_kind:     hidden_group_size_y
      - .offset:         200
        .size:           2
        .value_kind:     hidden_group_size_z
      - .offset:         202
        .size:           2
        .value_kind:     hidden_remainder_x
      - .offset:         204
        .size:           2
        .value_kind:     hidden_remainder_y
      - .offset:         206
        .size:           2
        .value_kind:     hidden_remainder_z
      - .offset:         224
        .size:           8
        .value_kind:     hidden_global_offset_x
      - .offset:         232
        .size:           8
        .value_kind:     hidden_global_offset_y
      - .offset:         240
        .size:           8
        .value_kind:     hidden_global_offset_z
      - .offset:         248
        .size:           2
        .value_kind:     hidden_grid_dims
    .group_segment_fixed_size: 0
    .kernarg_segment_align: 8
    .kernarg_segment_size: 440
    .language:       OpenCL C
    .language_version:
      - 2
      - 0
    .max_flat_workgroup_size: 1024
    .name:           _ZN2at6native12_GLOBAL__N_143conv_depthwise3d_cuda_backward_input_kernelIN3c108BFloat16EfLi3ELi3ELi3ELin1ELin1ELin1ELin1ELin1ELin1EEEvN5torch10headeronly6detail27GenericPackedTensorAccessorINS7_14TensorAccessorINS3_8ArrayRefIlEEKT_Lm4ENS6_16DefaultPtrTraitsEiEENS_6detail16IndexBoundsCheckILm5EiEESD_Lm5ESE_iEENS8_INS9_ISB_SC_Lm4ESE_iEESI_SC_Lm5ESE_iEESJ_iiiiiiiii
    .private_segment_fixed_size: 24
    .sgpr_count:     107
    .sgpr_spill_count: 15
    .symbol:         _ZN2at6native12_GLOBAL__N_143conv_depthwise3d_cuda_backward_input_kernelIN3c108BFloat16EfLi3ELi3ELi3ELin1ELin1ELin1ELin1ELin1ELin1EEEvN5torch10headeronly6detail27GenericPackedTensorAccessorINS7_14TensorAccessorINS3_8ArrayRefIlEEKT_Lm4ENS6_16DefaultPtrTraitsEiEENS_6detail16IndexBoundsCheckILm5EiEESD_Lm5ESE_iEENS8_INS9_ISB_SC_Lm4ESE_iEESI_SC_Lm5ESE_iEESJ_iiiiiiiii.kd
    .uniform_work_group_size: 1
    .uses_dynamic_stack: false
    .vgpr_count:     128
    .vgpr_spill_count: 5
    .wavefront_size: 32
    .workgroup_processor_mode: 1
  - .args:
      - .offset:         0
        .size:           48
        .value_kind:     by_value
      - .offset:         48
        .size:           48
        .value_kind:     by_value
      - .offset:         96
        .size:           48
        .value_kind:     by_value
      - .offset:         144
        .size:           4
        .value_kind:     by_value
      - .offset:         148
        .size:           4
        .value_kind:     by_value
      - .offset:         152
        .size:           4
        .value_kind:     by_value
      - .offset:         156
        .size:           4
        .value_kind:     by_value
      - .offset:         160
        .size:           4
        .value_kind:     by_value
      - .offset:         164
        .size:           4
        .value_kind:     by_value
      - .offset:         168
        .size:           4
        .value_kind:     by_value
      - .offset:         172
        .size:           4
        .value_kind:     by_value
      - .offset:         176
        .size:           4
        .value_kind:     by_value
      - .offset:         184
        .size:           4
        .value_kind:     hidden_block_count_x
      - .offset:         188
        .size:           4
        .value_kind:     hidden_block_count_y
      - .offset:         192
        .size:           4
        .value_kind:     hidden_block_count_z
      - .offset:         196
        .size:           2
        .value_kind:     hidden_group_size_x
      - .offset:         198
        .size:           2
        .value_kind:     hidden_group_size_y
      - .offset:         200
        .size:           2
        .value_kind:     hidden_group_size_z
      - .offset:         202
        .size:           2
        .value_kind:     hidden_remainder_x
      - .offset:         204
        .size:           2
        .value_kind:     hidden_remainder_y
      - .offset:         206
        .size:           2
        .value_kind:     hidden_remainder_z
      - .offset:         224
        .size:           8
        .value_kind:     hidden_global_offset_x
      - .offset:         232
        .size:           8
        .value_kind:     hidden_global_offset_y
      - .offset:         240
        .size:           8
        .value_kind:     hidden_global_offset_z
      - .offset:         248
        .size:           2
        .value_kind:     hidden_grid_dims
    .group_segment_fixed_size: 0
    .kernarg_segment_align: 8
    .kernarg_segment_size: 440
    .language:       OpenCL C
    .language_version:
      - 2
      - 0
    .max_flat_workgroup_size: 1024
    .name:           _ZN2at6native12_GLOBAL__N_143conv_depthwise3d_cuda_backward_input_kernelIN3c108BFloat16EfLin1ELin1ELin1ELin1ELin1ELin1ELin1ELin1ELin1EEEvN5torch10headeronly6detail27GenericPackedTensorAccessorINS7_14TensorAccessorINS3_8ArrayRefIlEEKT_Lm4ENS6_16DefaultPtrTraitsEiEENS_6detail16IndexBoundsCheckILm5EiEESD_Lm5ESE_iEENS8_INS9_ISB_SC_Lm4ESE_iEESI_SC_Lm5ESE_iEESJ_iiiiiiiii
    .private_segment_fixed_size: 0
    .sgpr_count:     70
    .sgpr_spill_count: 0
    .symbol:         _ZN2at6native12_GLOBAL__N_143conv_depthwise3d_cuda_backward_input_kernelIN3c108BFloat16EfLin1ELin1ELin1ELin1ELin1ELin1ELin1ELin1ELin1EEEvN5torch10headeronly6detail27GenericPackedTensorAccessorINS7_14TensorAccessorINS3_8ArrayRefIlEEKT_Lm4ENS6_16DefaultPtrTraitsEiEENS_6detail16IndexBoundsCheckILm5EiEESD_Lm5ESE_iEENS8_INS9_ISB_SC_Lm4ESE_iEESI_SC_Lm5ESE_iEESJ_iiiiiiiii.kd
    .uniform_work_group_size: 1
    .uses_dynamic_stack: false
    .vgpr_count:     35
    .vgpr_spill_count: 0
    .wavefront_size: 32
    .workgroup_processor_mode: 1
  - .args:
      - .offset:         0
        .size:           48
        .value_kind:     by_value
      - .offset:         48
        .size:           48
        .value_kind:     by_value
      - .offset:         96
        .size:           48
        .value_kind:     by_value
      - .offset:         144
        .size:           4
        .value_kind:     by_value
      - .offset:         148
        .size:           4
        .value_kind:     by_value
      - .offset:         152
        .size:           4
        .value_kind:     by_value
      - .offset:         156
        .size:           4
        .value_kind:     by_value
      - .offset:         160
        .size:           4
        .value_kind:     by_value
      - .offset:         164
        .size:           4
        .value_kind:     by_value
      - .offset:         168
        .size:           4
        .value_kind:     by_value
      - .offset:         172
        .size:           4
        .value_kind:     by_value
      - .offset:         176
        .size:           4
        .value_kind:     by_value
      - .offset:         184
        .size:           4
        .value_kind:     hidden_block_count_x
      - .offset:         188
        .size:           4
        .value_kind:     hidden_block_count_y
      - .offset:         192
        .size:           4
        .value_kind:     hidden_block_count_z
      - .offset:         196
        .size:           2
        .value_kind:     hidden_group_size_x
      - .offset:         198
        .size:           2
        .value_kind:     hidden_group_size_y
      - .offset:         200
        .size:           2
        .value_kind:     hidden_group_size_z
      - .offset:         202
        .size:           2
        .value_kind:     hidden_remainder_x
      - .offset:         204
        .size:           2
        .value_kind:     hidden_remainder_y
      - .offset:         206
        .size:           2
        .value_kind:     hidden_remainder_z
      - .offset:         224
        .size:           8
        .value_kind:     hidden_global_offset_x
      - .offset:         232
        .size:           8
        .value_kind:     hidden_global_offset_y
      - .offset:         240
        .size:           8
        .value_kind:     hidden_global_offset_z
      - .offset:         248
        .size:           2
        .value_kind:     hidden_grid_dims
      - .offset:         304
        .size:           4
        .value_kind:     hidden_dynamic_lds_size
    .group_segment_fixed_size: 0
    .kernarg_segment_align: 8
    .kernarg_segment_size: 440
    .language:       OpenCL C
    .language_version:
      - 2
      - 0
    .max_flat_workgroup_size: 1024
    .name:           _ZN2at6native12_GLOBAL__N_144conv_depthwise3d_cuda_backward_weight_kernelIddLi1ELi1EEEvN5torch10headeronly6detail27GenericPackedTensorAccessorINS5_14TensorAccessorIN3c108ArrayRefIlEEKT_Lm4ENS4_16DefaultPtrTraitsEiEENS_6detail16IndexBoundsCheckILm5EiEESC_Lm5ESD_iEESI_NS6_INS7_ISA_SB_Lm4ESD_iEESH_SB_Lm5ESD_iEEiiiiiiiii
    .private_segment_fixed_size: 0
    .sgpr_count:     49
    .sgpr_spill_count: 0
    .symbol:         _ZN2at6native12_GLOBAL__N_144conv_depthwise3d_cuda_backward_weight_kernelIddLi1ELi1EEEvN5torch10headeronly6detail27GenericPackedTensorAccessorINS5_14TensorAccessorIN3c108ArrayRefIlEEKT_Lm4ENS4_16DefaultPtrTraitsEiEENS_6detail16IndexBoundsCheckILm5EiEESC_Lm5ESD_iEESI_NS6_INS7_ISA_SB_Lm4ESD_iEESH_SB_Lm5ESD_iEEiiiiiiiii.kd
    .uniform_work_group_size: 1
    .uses_dynamic_stack: false
    .vgpr_count:     22
    .vgpr_spill_count: 0
    .wavefront_size: 32
    .workgroup_processor_mode: 1
  - .args:
      - .offset:         0
        .size:           48
        .value_kind:     by_value
      - .offset:         48
        .size:           48
        .value_kind:     by_value
      - .offset:         96
        .size:           48
        .value_kind:     by_value
      - .offset:         144
        .size:           4
        .value_kind:     by_value
      - .offset:         148
        .size:           4
        .value_kind:     by_value
      - .offset:         152
        .size:           4
        .value_kind:     by_value
      - .offset:         156
        .size:           4
        .value_kind:     by_value
      - .offset:         160
        .size:           4
        .value_kind:     by_value
      - .offset:         164
        .size:           4
        .value_kind:     by_value
      - .offset:         168
        .size:           4
        .value_kind:     by_value
      - .offset:         172
        .size:           4
        .value_kind:     by_value
      - .offset:         176
        .size:           4
        .value_kind:     by_value
      - .offset:         184
        .size:           4
        .value_kind:     hidden_block_count_x
      - .offset:         188
        .size:           4
        .value_kind:     hidden_block_count_y
      - .offset:         192
        .size:           4
        .value_kind:     hidden_block_count_z
      - .offset:         196
        .size:           2
        .value_kind:     hidden_group_size_x
      - .offset:         198
        .size:           2
        .value_kind:     hidden_group_size_y
      - .offset:         200
        .size:           2
        .value_kind:     hidden_group_size_z
      - .offset:         202
        .size:           2
        .value_kind:     hidden_remainder_x
      - .offset:         204
        .size:           2
        .value_kind:     hidden_remainder_y
      - .offset:         206
        .size:           2
        .value_kind:     hidden_remainder_z
      - .offset:         224
        .size:           8
        .value_kind:     hidden_global_offset_x
      - .offset:         232
        .size:           8
        .value_kind:     hidden_global_offset_y
      - .offset:         240
        .size:           8
        .value_kind:     hidden_global_offset_z
      - .offset:         248
        .size:           2
        .value_kind:     hidden_grid_dims
      - .offset:         304
        .size:           4
        .value_kind:     hidden_dynamic_lds_size
    .group_segment_fixed_size: 0
    .kernarg_segment_align: 8
    .kernarg_segment_size: 440
    .language:       OpenCL C
    .language_version:
      - 2
      - 0
    .max_flat_workgroup_size: 1024
    .name:           _ZN2at6native12_GLOBAL__N_144conv_depthwise3d_cuda_backward_weight_kernelIddLi2ELi2EEEvN5torch10headeronly6detail27GenericPackedTensorAccessorINS5_14TensorAccessorIN3c108ArrayRefIlEEKT_Lm4ENS4_16DefaultPtrTraitsEiEENS_6detail16IndexBoundsCheckILm5EiEESC_Lm5ESD_iEESI_NS6_INS7_ISA_SB_Lm4ESD_iEESH_SB_Lm5ESD_iEEiiiiiiiii
    .private_segment_fixed_size: 0
    .sgpr_count:     49
    .sgpr_spill_count: 0
    .symbol:         _ZN2at6native12_GLOBAL__N_144conv_depthwise3d_cuda_backward_weight_kernelIddLi2ELi2EEEvN5torch10headeronly6detail27GenericPackedTensorAccessorINS5_14TensorAccessorIN3c108ArrayRefIlEEKT_Lm4ENS4_16DefaultPtrTraitsEiEENS_6detail16IndexBoundsCheckILm5EiEESC_Lm5ESD_iEESI_NS6_INS7_ISA_SB_Lm4ESD_iEESH_SB_Lm5ESD_iEEiiiiiiiii.kd
    .uniform_work_group_size: 1
    .uses_dynamic_stack: false
    .vgpr_count:     22
    .vgpr_spill_count: 0
    .wavefront_size: 32
    .workgroup_processor_mode: 1
  - .args:
      - .offset:         0
        .size:           48
        .value_kind:     by_value
      - .offset:         48
        .size:           48
        .value_kind:     by_value
      - .offset:         96
        .size:           48
        .value_kind:     by_value
      - .offset:         144
        .size:           4
        .value_kind:     by_value
      - .offset:         148
        .size:           4
        .value_kind:     by_value
      - .offset:         152
        .size:           4
        .value_kind:     by_value
      - .offset:         156
        .size:           4
        .value_kind:     by_value
      - .offset:         160
        .size:           4
        .value_kind:     by_value
      - .offset:         164
        .size:           4
        .value_kind:     by_value
      - .offset:         168
        .size:           4
        .value_kind:     by_value
      - .offset:         172
        .size:           4
        .value_kind:     by_value
      - .offset:         176
        .size:           4
        .value_kind:     by_value
      - .offset:         184
        .size:           4
        .value_kind:     hidden_block_count_x
      - .offset:         188
        .size:           4
        .value_kind:     hidden_block_count_y
      - .offset:         192
        .size:           4
        .value_kind:     hidden_block_count_z
      - .offset:         196
        .size:           2
        .value_kind:     hidden_group_size_x
      - .offset:         198
        .size:           2
        .value_kind:     hidden_group_size_y
      - .offset:         200
        .size:           2
        .value_kind:     hidden_group_size_z
      - .offset:         202
        .size:           2
        .value_kind:     hidden_remainder_x
      - .offset:         204
        .size:           2
        .value_kind:     hidden_remainder_y
      - .offset:         206
        .size:           2
        .value_kind:     hidden_remainder_z
      - .offset:         224
        .size:           8
        .value_kind:     hidden_global_offset_x
      - .offset:         232
        .size:           8
        .value_kind:     hidden_global_offset_y
      - .offset:         240
        .size:           8
        .value_kind:     hidden_global_offset_z
      - .offset:         248
        .size:           2
        .value_kind:     hidden_grid_dims
      - .offset:         304
        .size:           4
        .value_kind:     hidden_dynamic_lds_size
    .group_segment_fixed_size: 0
    .kernarg_segment_align: 8
    .kernarg_segment_size: 440
    .language:       OpenCL C
    .language_version:
      - 2
      - 0
    .max_flat_workgroup_size: 1024
    .name:           _ZN2at6native12_GLOBAL__N_144conv_depthwise3d_cuda_backward_weight_kernelIddLin1ELin1EEEvN5torch10headeronly6detail27GenericPackedTensorAccessorINS5_14TensorAccessorIN3c108ArrayRefIlEEKT_Lm4ENS4_16DefaultPtrTraitsEiEENS_6detail16IndexBoundsCheckILm5EiEESC_Lm5ESD_iEESI_NS6_INS7_ISA_SB_Lm4ESD_iEESH_SB_Lm5ESD_iEEiiiiiiiii
    .private_segment_fixed_size: 0
    .sgpr_count:     51
    .sgpr_spill_count: 0
    .symbol:         _ZN2at6native12_GLOBAL__N_144conv_depthwise3d_cuda_backward_weight_kernelIddLin1ELin1EEEvN5torch10headeronly6detail27GenericPackedTensorAccessorINS5_14TensorAccessorIN3c108ArrayRefIlEEKT_Lm4ENS4_16DefaultPtrTraitsEiEENS_6detail16IndexBoundsCheckILm5EiEESC_Lm5ESD_iEESI_NS6_INS7_ISA_SB_Lm4ESD_iEESH_SB_Lm5ESD_iEEiiiiiiiii.kd
    .uniform_work_group_size: 1
    .uses_dynamic_stack: false
    .vgpr_count:     23
    .vgpr_spill_count: 0
    .wavefront_size: 32
    .workgroup_processor_mode: 1
  - .args:
      - .offset:         0
        .size:           48
        .value_kind:     by_value
      - .offset:         48
        .size:           48
        .value_kind:     by_value
      - .offset:         96
        .size:           48
        .value_kind:     by_value
      - .offset:         144
        .size:           4
        .value_kind:     by_value
      - .offset:         148
        .size:           4
        .value_kind:     by_value
      - .offset:         152
        .size:           4
        .value_kind:     by_value
      - .offset:         156
        .size:           4
        .value_kind:     by_value
      - .offset:         160
        .size:           4
        .value_kind:     by_value
      - .offset:         164
        .size:           4
        .value_kind:     by_value
      - .offset:         168
        .size:           4
        .value_kind:     by_value
      - .offset:         172
        .size:           4
        .value_kind:     by_value
      - .offset:         176
        .size:           4
        .value_kind:     by_value
      - .offset:         184
        .size:           4
        .value_kind:     hidden_block_count_x
      - .offset:         188
        .size:           4
        .value_kind:     hidden_block_count_y
      - .offset:         192
        .size:           4
        .value_kind:     hidden_block_count_z
      - .offset:         196
        .size:           2
        .value_kind:     hidden_group_size_x
      - .offset:         198
        .size:           2
        .value_kind:     hidden_group_size_y
      - .offset:         200
        .size:           2
        .value_kind:     hidden_group_size_z
      - .offset:         202
        .size:           2
        .value_kind:     hidden_remainder_x
      - .offset:         204
        .size:           2
        .value_kind:     hidden_remainder_y
      - .offset:         206
        .size:           2
        .value_kind:     hidden_remainder_z
      - .offset:         224
        .size:           8
        .value_kind:     hidden_global_offset_x
      - .offset:         232
        .size:           8
        .value_kind:     hidden_global_offset_y
      - .offset:         240
        .size:           8
        .value_kind:     hidden_global_offset_z
      - .offset:         248
        .size:           2
        .value_kind:     hidden_grid_dims
      - .offset:         304
        .size:           4
        .value_kind:     hidden_dynamic_lds_size
    .group_segment_fixed_size: 0
    .kernarg_segment_align: 8
    .kernarg_segment_size: 440
    .language:       OpenCL C
    .language_version:
      - 2
      - 0
    .max_flat_workgroup_size: 1024
    .name:           _ZN2at6native12_GLOBAL__N_144conv_depthwise3d_cuda_backward_weight_kernelIffLi1ELi1EEEvN5torch10headeronly6detail27GenericPackedTensorAccessorINS5_14TensorAccessorIN3c108ArrayRefIlEEKT_Lm4ENS4_16DefaultPtrTraitsEiEENS_6detail16IndexBoundsCheckILm5EiEESC_Lm5ESD_iEESI_NS6_INS7_ISA_SB_Lm4ESD_iEESH_SB_Lm5ESD_iEEiiiiiiiii
    .private_segment_fixed_size: 0
    .sgpr_count:     49
    .sgpr_spill_count: 0
    .symbol:         _ZN2at6native12_GLOBAL__N_144conv_depthwise3d_cuda_backward_weight_kernelIffLi1ELi1EEEvN5torch10headeronly6detail27GenericPackedTensorAccessorINS5_14TensorAccessorIN3c108ArrayRefIlEEKT_Lm4ENS4_16DefaultPtrTraitsEiEENS_6detail16IndexBoundsCheckILm5EiEESC_Lm5ESD_iEESI_NS6_INS7_ISA_SB_Lm4ESD_iEESH_SB_Lm5ESD_iEEiiiiiiiii.kd
    .uniform_work_group_size: 1
    .uses_dynamic_stack: false
    .vgpr_count:     19
    .vgpr_spill_count: 0
    .wavefront_size: 32
    .workgroup_processor_mode: 1
  - .args:
      - .offset:         0
        .size:           48
        .value_kind:     by_value
      - .offset:         48
        .size:           48
        .value_kind:     by_value
      - .offset:         96
        .size:           48
        .value_kind:     by_value
      - .offset:         144
        .size:           4
        .value_kind:     by_value
      - .offset:         148
        .size:           4
        .value_kind:     by_value
      - .offset:         152
        .size:           4
        .value_kind:     by_value
      - .offset:         156
        .size:           4
        .value_kind:     by_value
      - .offset:         160
        .size:           4
        .value_kind:     by_value
      - .offset:         164
        .size:           4
        .value_kind:     by_value
      - .offset:         168
        .size:           4
        .value_kind:     by_value
      - .offset:         172
        .size:           4
        .value_kind:     by_value
      - .offset:         176
        .size:           4
        .value_kind:     by_value
      - .offset:         184
        .size:           4
        .value_kind:     hidden_block_count_x
      - .offset:         188
        .size:           4
        .value_kind:     hidden_block_count_y
      - .offset:         192
        .size:           4
        .value_kind:     hidden_block_count_z
      - .offset:         196
        .size:           2
        .value_kind:     hidden_group_size_x
      - .offset:         198
        .size:           2
        .value_kind:     hidden_group_size_y
      - .offset:         200
        .size:           2
        .value_kind:     hidden_group_size_z
      - .offset:         202
        .size:           2
        .value_kind:     hidden_remainder_x
      - .offset:         204
        .size:           2
        .value_kind:     hidden_remainder_y
      - .offset:         206
        .size:           2
        .value_kind:     hidden_remainder_z
      - .offset:         224
        .size:           8
        .value_kind:     hidden_global_offset_x
      - .offset:         232
        .size:           8
        .value_kind:     hidden_global_offset_y
      - .offset:         240
        .size:           8
        .value_kind:     hidden_global_offset_z
      - .offset:         248
        .size:           2
        .value_kind:     hidden_grid_dims
      - .offset:         304
        .size:           4
        .value_kind:     hidden_dynamic_lds_size
    .group_segment_fixed_size: 0
    .kernarg_segment_align: 8
    .kernarg_segment_size: 440
    .language:       OpenCL C
    .language_version:
      - 2
      - 0
    .max_flat_workgroup_size: 1024
    .name:           _ZN2at6native12_GLOBAL__N_144conv_depthwise3d_cuda_backward_weight_kernelIffLi2ELi2EEEvN5torch10headeronly6detail27GenericPackedTensorAccessorINS5_14TensorAccessorIN3c108ArrayRefIlEEKT_Lm4ENS4_16DefaultPtrTraitsEiEENS_6detail16IndexBoundsCheckILm5EiEESC_Lm5ESD_iEESI_NS6_INS7_ISA_SB_Lm4ESD_iEESH_SB_Lm5ESD_iEEiiiiiiiii
    .private_segment_fixed_size: 0
    .sgpr_count:     49
    .sgpr_spill_count: 0
    .symbol:         _ZN2at6native12_GLOBAL__N_144conv_depthwise3d_cuda_backward_weight_kernelIffLi2ELi2EEEvN5torch10headeronly6detail27GenericPackedTensorAccessorINS5_14TensorAccessorIN3c108ArrayRefIlEEKT_Lm4ENS4_16DefaultPtrTraitsEiEENS_6detail16IndexBoundsCheckILm5EiEESC_Lm5ESD_iEESI_NS6_INS7_ISA_SB_Lm4ESD_iEESH_SB_Lm5ESD_iEEiiiiiiiii.kd
    .uniform_work_group_size: 1
    .uses_dynamic_stack: false
    .vgpr_count:     19
    .vgpr_spill_count: 0
    .wavefront_size: 32
    .workgroup_processor_mode: 1
  - .args:
      - .offset:         0
        .size:           48
        .value_kind:     by_value
      - .offset:         48
        .size:           48
        .value_kind:     by_value
      - .offset:         96
        .size:           48
        .value_kind:     by_value
      - .offset:         144
        .size:           4
        .value_kind:     by_value
      - .offset:         148
        .size:           4
        .value_kind:     by_value
      - .offset:         152
        .size:           4
        .value_kind:     by_value
      - .offset:         156
        .size:           4
        .value_kind:     by_value
      - .offset:         160
        .size:           4
        .value_kind:     by_value
      - .offset:         164
        .size:           4
        .value_kind:     by_value
      - .offset:         168
        .size:           4
        .value_kind:     by_value
      - .offset:         172
        .size:           4
        .value_kind:     by_value
      - .offset:         176
        .size:           4
        .value_kind:     by_value
      - .offset:         184
        .size:           4
        .value_kind:     hidden_block_count_x
      - .offset:         188
        .size:           4
        .value_kind:     hidden_block_count_y
      - .offset:         192
        .size:           4
        .value_kind:     hidden_block_count_z
      - .offset:         196
        .size:           2
        .value_kind:     hidden_group_size_x
      - .offset:         198
        .size:           2
        .value_kind:     hidden_group_size_y
      - .offset:         200
        .size:           2
        .value_kind:     hidden_group_size_z
      - .offset:         202
        .size:           2
        .value_kind:     hidden_remainder_x
      - .offset:         204
        .size:           2
        .value_kind:     hidden_remainder_y
      - .offset:         206
        .size:           2
        .value_kind:     hidden_remainder_z
      - .offset:         224
        .size:           8
        .value_kind:     hidden_global_offset_x
      - .offset:         232
        .size:           8
        .value_kind:     hidden_global_offset_y
      - .offset:         240
        .size:           8
        .value_kind:     hidden_global_offset_z
      - .offset:         248
        .size:           2
        .value_kind:     hidden_grid_dims
      - .offset:         304
        .size:           4
        .value_kind:     hidden_dynamic_lds_size
    .group_segment_fixed_size: 0
    .kernarg_segment_align: 8
    .kernarg_segment_size: 440
    .language:       OpenCL C
    .language_version:
      - 2
      - 0
    .max_flat_workgroup_size: 1024
    .name:           _ZN2at6native12_GLOBAL__N_144conv_depthwise3d_cuda_backward_weight_kernelIffLin1ELin1EEEvN5torch10headeronly6detail27GenericPackedTensorAccessorINS5_14TensorAccessorIN3c108ArrayRefIlEEKT_Lm4ENS4_16DefaultPtrTraitsEiEENS_6detail16IndexBoundsCheckILm5EiEESC_Lm5ESD_iEESI_NS6_INS7_ISA_SB_Lm4ESD_iEESH_SB_Lm5ESD_iEEiiiiiiiii
    .private_segment_fixed_size: 0
    .sgpr_count:     51
    .sgpr_spill_count: 0
    .symbol:         _ZN2at6native12_GLOBAL__N_144conv_depthwise3d_cuda_backward_weight_kernelIffLin1ELin1EEEvN5torch10headeronly6detail27GenericPackedTensorAccessorINS5_14TensorAccessorIN3c108ArrayRefIlEEKT_Lm4ENS4_16DefaultPtrTraitsEiEENS_6detail16IndexBoundsCheckILm5EiEESC_Lm5ESD_iEESI_NS6_INS7_ISA_SB_Lm4ESD_iEESH_SB_Lm5ESD_iEEiiiiiiiii.kd
    .uniform_work_group_size: 1
    .uses_dynamic_stack: false
    .vgpr_count:     19
    .vgpr_spill_count: 0
    .wavefront_size: 32
    .workgroup_processor_mode: 1
  - .args:
      - .offset:         0
        .size:           48
        .value_kind:     by_value
      - .offset:         48
        .size:           48
        .value_kind:     by_value
      - .offset:         96
        .size:           48
        .value_kind:     by_value
      - .offset:         144
        .size:           4
        .value_kind:     by_value
      - .offset:         148
        .size:           4
        .value_kind:     by_value
      - .offset:         152
        .size:           4
        .value_kind:     by_value
      - .offset:         156
        .size:           4
        .value_kind:     by_value
      - .offset:         160
        .size:           4
        .value_kind:     by_value
      - .offset:         164
        .size:           4
        .value_kind:     by_value
      - .offset:         168
        .size:           4
        .value_kind:     by_value
      - .offset:         172
        .size:           4
        .value_kind:     by_value
      - .offset:         176
        .size:           4
        .value_kind:     by_value
      - .offset:         184
        .size:           4
        .value_kind:     hidden_block_count_x
      - .offset:         188
        .size:           4
        .value_kind:     hidden_block_count_y
      - .offset:         192
        .size:           4
        .value_kind:     hidden_block_count_z
      - .offset:         196
        .size:           2
        .value_kind:     hidden_group_size_x
      - .offset:         198
        .size:           2
        .value_kind:     hidden_group_size_y
      - .offset:         200
        .size:           2
        .value_kind:     hidden_group_size_z
      - .offset:         202
        .size:           2
        .value_kind:     hidden_remainder_x
      - .offset:         204
        .size:           2
        .value_kind:     hidden_remainder_y
      - .offset:         206
        .size:           2
        .value_kind:     hidden_remainder_z
      - .offset:         224
        .size:           8
        .value_kind:     hidden_global_offset_x
      - .offset:         232
        .size:           8
        .value_kind:     hidden_global_offset_y
      - .offset:         240
        .size:           8
        .value_kind:     hidden_global_offset_z
      - .offset:         248
        .size:           2
        .value_kind:     hidden_grid_dims
      - .offset:         304
        .size:           4
        .value_kind:     hidden_dynamic_lds_size
    .group_segment_fixed_size: 0
    .kernarg_segment_align: 8
    .kernarg_segment_size: 440
    .language:       OpenCL C
    .language_version:
      - 2
      - 0
    .max_flat_workgroup_size: 1024
    .name:           _ZN2at6native12_GLOBAL__N_144conv_depthwise3d_cuda_backward_weight_kernelIN3c104HalfEfLi1ELi1EEEvN5torch10headeronly6detail27GenericPackedTensorAccessorINS7_14TensorAccessorINS3_8ArrayRefIlEEKT_Lm4ENS6_16DefaultPtrTraitsEiEENS_6detail16IndexBoundsCheckILm5EiEESD_Lm5ESE_iEESJ_NS8_INS9_ISB_SC_Lm4ESE_iEESI_SC_Lm5ESE_iEEiiiiiiiii
    .private_segment_fixed_size: 0
    .sgpr_count:     49
    .sgpr_spill_count: 0
    .symbol:         _ZN2at6native12_GLOBAL__N_144conv_depthwise3d_cuda_backward_weight_kernelIN3c104HalfEfLi1ELi1EEEvN5torch10headeronly6detail27GenericPackedTensorAccessorINS7_14TensorAccessorINS3_8ArrayRefIlEEKT_Lm4ENS6_16DefaultPtrTraitsEiEENS_6detail16IndexBoundsCheckILm5EiEESD_Lm5ESE_iEESJ_NS8_INS9_ISB_SC_Lm4ESE_iEESI_SC_Lm5ESE_iEEiiiiiiiii.kd
    .uniform_work_group_size: 1
    .uses_dynamic_stack: false
    .vgpr_count:     19
    .vgpr_spill_count: 0
    .wavefront_size: 32
    .workgroup_processor_mode: 1
  - .args:
      - .offset:         0
        .size:           48
        .value_kind:     by_value
      - .offset:         48
        .size:           48
        .value_kind:     by_value
      - .offset:         96
        .size:           48
        .value_kind:     by_value
      - .offset:         144
        .size:           4
        .value_kind:     by_value
      - .offset:         148
        .size:           4
        .value_kind:     by_value
      - .offset:         152
        .size:           4
        .value_kind:     by_value
      - .offset:         156
        .size:           4
        .value_kind:     by_value
      - .offset:         160
        .size:           4
        .value_kind:     by_value
      - .offset:         164
        .size:           4
        .value_kind:     by_value
      - .offset:         168
        .size:           4
        .value_kind:     by_value
      - .offset:         172
        .size:           4
        .value_kind:     by_value
      - .offset:         176
        .size:           4
        .value_kind:     by_value
      - .offset:         184
        .size:           4
        .value_kind:     hidden_block_count_x
      - .offset:         188
        .size:           4
        .value_kind:     hidden_block_count_y
      - .offset:         192
        .size:           4
        .value_kind:     hidden_block_count_z
      - .offset:         196
        .size:           2
        .value_kind:     hidden_group_size_x
      - .offset:         198
        .size:           2
        .value_kind:     hidden_group_size_y
      - .offset:         200
        .size:           2
        .value_kind:     hidden_group_size_z
      - .offset:         202
        .size:           2
        .value_kind:     hidden_remainder_x
      - .offset:         204
        .size:           2
        .value_kind:     hidden_remainder_y
      - .offset:         206
        .size:           2
        .value_kind:     hidden_remainder_z
      - .offset:         224
        .size:           8
        .value_kind:     hidden_global_offset_x
      - .offset:         232
        .size:           8
        .value_kind:     hidden_global_offset_y
      - .offset:         240
        .size:           8
        .value_kind:     hidden_global_offset_z
      - .offset:         248
        .size:           2
        .value_kind:     hidden_grid_dims
      - .offset:         304
        .size:           4
        .value_kind:     hidden_dynamic_lds_size
    .group_segment_fixed_size: 0
    .kernarg_segment_align: 8
    .kernarg_segment_size: 440
    .language:       OpenCL C
    .language_version:
      - 2
      - 0
    .max_flat_workgroup_size: 1024
    .name:           _ZN2at6native12_GLOBAL__N_144conv_depthwise3d_cuda_backward_weight_kernelIN3c104HalfEfLi2ELi2EEEvN5torch10headeronly6detail27GenericPackedTensorAccessorINS7_14TensorAccessorINS3_8ArrayRefIlEEKT_Lm4ENS6_16DefaultPtrTraitsEiEENS_6detail16IndexBoundsCheckILm5EiEESD_Lm5ESE_iEESJ_NS8_INS9_ISB_SC_Lm4ESE_iEESI_SC_Lm5ESE_iEEiiiiiiiii
    .private_segment_fixed_size: 0
    .sgpr_count:     49
    .sgpr_spill_count: 0
    .symbol:         _ZN2at6native12_GLOBAL__N_144conv_depthwise3d_cuda_backward_weight_kernelIN3c104HalfEfLi2ELi2EEEvN5torch10headeronly6detail27GenericPackedTensorAccessorINS7_14TensorAccessorINS3_8ArrayRefIlEEKT_Lm4ENS6_16DefaultPtrTraitsEiEENS_6detail16IndexBoundsCheckILm5EiEESD_Lm5ESE_iEESJ_NS8_INS9_ISB_SC_Lm4ESE_iEESI_SC_Lm5ESE_iEEiiiiiiiii.kd
    .uniform_work_group_size: 1
    .uses_dynamic_stack: false
    .vgpr_count:     19
    .vgpr_spill_count: 0
    .wavefront_size: 32
    .workgroup_processor_mode: 1
  - .args:
      - .offset:         0
        .size:           48
        .value_kind:     by_value
      - .offset:         48
        .size:           48
        .value_kind:     by_value
      - .offset:         96
        .size:           48
        .value_kind:     by_value
      - .offset:         144
        .size:           4
        .value_kind:     by_value
      - .offset:         148
        .size:           4
        .value_kind:     by_value
      - .offset:         152
        .size:           4
        .value_kind:     by_value
      - .offset:         156
        .size:           4
        .value_kind:     by_value
      - .offset:         160
        .size:           4
        .value_kind:     by_value
      - .offset:         164
        .size:           4
        .value_kind:     by_value
      - .offset:         168
        .size:           4
        .value_kind:     by_value
      - .offset:         172
        .size:           4
        .value_kind:     by_value
      - .offset:         176
        .size:           4
        .value_kind:     by_value
      - .offset:         184
        .size:           4
        .value_kind:     hidden_block_count_x
      - .offset:         188
        .size:           4
        .value_kind:     hidden_block_count_y
      - .offset:         192
        .size:           4
        .value_kind:     hidden_block_count_z
      - .offset:         196
        .size:           2
        .value_kind:     hidden_group_size_x
      - .offset:         198
        .size:           2
        .value_kind:     hidden_group_size_y
      - .offset:         200
        .size:           2
        .value_kind:     hidden_group_size_z
      - .offset:         202
        .size:           2
        .value_kind:     hidden_remainder_x
      - .offset:         204
        .size:           2
        .value_kind:     hidden_remainder_y
      - .offset:         206
        .size:           2
        .value_kind:     hidden_remainder_z
      - .offset:         224
        .size:           8
        .value_kind:     hidden_global_offset_x
      - .offset:         232
        .size:           8
        .value_kind:     hidden_global_offset_y
      - .offset:         240
        .size:           8
        .value_kind:     hidden_global_offset_z
      - .offset:         248
        .size:           2
        .value_kind:     hidden_grid_dims
      - .offset:         304
        .size:           4
        .value_kind:     hidden_dynamic_lds_size
    .group_segment_fixed_size: 0
    .kernarg_segment_align: 8
    .kernarg_segment_size: 440
    .language:       OpenCL C
    .language_version:
      - 2
      - 0
    .max_flat_workgroup_size: 1024
    .name:           _ZN2at6native12_GLOBAL__N_144conv_depthwise3d_cuda_backward_weight_kernelIN3c104HalfEfLin1ELin1EEEvN5torch10headeronly6detail27GenericPackedTensorAccessorINS7_14TensorAccessorINS3_8ArrayRefIlEEKT_Lm4ENS6_16DefaultPtrTraitsEiEENS_6detail16IndexBoundsCheckILm5EiEESD_Lm5ESE_iEESJ_NS8_INS9_ISB_SC_Lm4ESE_iEESI_SC_Lm5ESE_iEEiiiiiiiii
    .private_segment_fixed_size: 0
    .sgpr_count:     51
    .sgpr_spill_count: 0
    .symbol:         _ZN2at6native12_GLOBAL__N_144conv_depthwise3d_cuda_backward_weight_kernelIN3c104HalfEfLin1ELin1EEEvN5torch10headeronly6detail27GenericPackedTensorAccessorINS7_14TensorAccessorINS3_8ArrayRefIlEEKT_Lm4ENS6_16DefaultPtrTraitsEiEENS_6detail16IndexBoundsCheckILm5EiEESD_Lm5ESE_iEESJ_NS8_INS9_ISB_SC_Lm4ESE_iEESI_SC_Lm5ESE_iEEiiiiiiiii.kd
    .uniform_work_group_size: 1
    .uses_dynamic_stack: false
    .vgpr_count:     19
    .vgpr_spill_count: 0
    .wavefront_size: 32
    .workgroup_processor_mode: 1
  - .args:
      - .offset:         0
        .size:           48
        .value_kind:     by_value
      - .offset:         48
        .size:           48
        .value_kind:     by_value
      - .offset:         96
        .size:           48
        .value_kind:     by_value
      - .offset:         144
        .size:           4
        .value_kind:     by_value
      - .offset:         148
        .size:           4
        .value_kind:     by_value
      - .offset:         152
        .size:           4
        .value_kind:     by_value
      - .offset:         156
        .size:           4
        .value_kind:     by_value
      - .offset:         160
        .size:           4
        .value_kind:     by_value
      - .offset:         164
        .size:           4
        .value_kind:     by_value
      - .offset:         168
        .size:           4
        .value_kind:     by_value
      - .offset:         172
        .size:           4
        .value_kind:     by_value
      - .offset:         176
        .size:           4
        .value_kind:     by_value
      - .offset:         184
        .size:           4
        .value_kind:     hidden_block_count_x
      - .offset:         188
        .size:           4
        .value_kind:     hidden_block_count_y
      - .offset:         192
        .size:           4
        .value_kind:     hidden_block_count_z
      - .offset:         196
        .size:           2
        .value_kind:     hidden_group_size_x
      - .offset:         198
        .size:           2
        .value_kind:     hidden_group_size_y
      - .offset:         200
        .size:           2
        .value_kind:     hidden_group_size_z
      - .offset:         202
        .size:           2
        .value_kind:     hidden_remainder_x
      - .offset:         204
        .size:           2
        .value_kind:     hidden_remainder_y
      - .offset:         206
        .size:           2
        .value_kind:     hidden_remainder_z
      - .offset:         224
        .size:           8
        .value_kind:     hidden_global_offset_x
      - .offset:         232
        .size:           8
        .value_kind:     hidden_global_offset_y
      - .offset:         240
        .size:           8
        .value_kind:     hidden_global_offset_z
      - .offset:         248
        .size:           2
        .value_kind:     hidden_grid_dims
      - .offset:         304
        .size:           4
        .value_kind:     hidden_dynamic_lds_size
    .group_segment_fixed_size: 0
    .kernarg_segment_align: 8
    .kernarg_segment_size: 440
    .language:       OpenCL C
    .language_version:
      - 2
      - 0
    .max_flat_workgroup_size: 1024
    .name:           _ZN2at6native12_GLOBAL__N_144conv_depthwise3d_cuda_backward_weight_kernelIN3c108BFloat16EfLi1ELi1EEEvN5torch10headeronly6detail27GenericPackedTensorAccessorINS7_14TensorAccessorINS3_8ArrayRefIlEEKT_Lm4ENS6_16DefaultPtrTraitsEiEENS_6detail16IndexBoundsCheckILm5EiEESD_Lm5ESE_iEESJ_NS8_INS9_ISB_SC_Lm4ESE_iEESI_SC_Lm5ESE_iEEiiiiiiiii
    .private_segment_fixed_size: 0
    .sgpr_count:     49
    .sgpr_spill_count: 0
    .symbol:         _ZN2at6native12_GLOBAL__N_144conv_depthwise3d_cuda_backward_weight_kernelIN3c108BFloat16EfLi1ELi1EEEvN5torch10headeronly6detail27GenericPackedTensorAccessorINS7_14TensorAccessorINS3_8ArrayRefIlEEKT_Lm4ENS6_16DefaultPtrTraitsEiEENS_6detail16IndexBoundsCheckILm5EiEESD_Lm5ESE_iEESJ_NS8_INS9_ISB_SC_Lm4ESE_iEESI_SC_Lm5ESE_iEEiiiiiiiii.kd
    .uniform_work_group_size: 1
    .uses_dynamic_stack: false
    .vgpr_count:     19
    .vgpr_spill_count: 0
    .wavefront_size: 32
    .workgroup_processor_mode: 1
  - .args:
      - .offset:         0
        .size:           48
        .value_kind:     by_value
      - .offset:         48
        .size:           48
        .value_kind:     by_value
      - .offset:         96
        .size:           48
        .value_kind:     by_value
      - .offset:         144
        .size:           4
        .value_kind:     by_value
      - .offset:         148
        .size:           4
        .value_kind:     by_value
      - .offset:         152
        .size:           4
        .value_kind:     by_value
      - .offset:         156
        .size:           4
        .value_kind:     by_value
      - .offset:         160
        .size:           4
        .value_kind:     by_value
      - .offset:         164
        .size:           4
        .value_kind:     by_value
      - .offset:         168
        .size:           4
        .value_kind:     by_value
      - .offset:         172
        .size:           4
        .value_kind:     by_value
      - .offset:         176
        .size:           4
        .value_kind:     by_value
      - .offset:         184
        .size:           4
        .value_kind:     hidden_block_count_x
      - .offset:         188
        .size:           4
        .value_kind:     hidden_block_count_y
      - .offset:         192
        .size:           4
        .value_kind:     hidden_block_count_z
      - .offset:         196
        .size:           2
        .value_kind:     hidden_group_size_x
      - .offset:         198
        .size:           2
        .value_kind:     hidden_group_size_y
      - .offset:         200
        .size:           2
        .value_kind:     hidden_group_size_z
      - .offset:         202
        .size:           2
        .value_kind:     hidden_remainder_x
      - .offset:         204
        .size:           2
        .value_kind:     hidden_remainder_y
      - .offset:         206
        .size:           2
        .value_kind:     hidden_remainder_z
      - .offset:         224
        .size:           8
        .value_kind:     hidden_global_offset_x
      - .offset:         232
        .size:           8
        .value_kind:     hidden_global_offset_y
      - .offset:         240
        .size:           8
        .value_kind:     hidden_global_offset_z
      - .offset:         248
        .size:           2
        .value_kind:     hidden_grid_dims
      - .offset:         304
        .size:           4
        .value_kind:     hidden_dynamic_lds_size
    .group_segment_fixed_size: 0
    .kernarg_segment_align: 8
    .kernarg_segment_size: 440
    .language:       OpenCL C
    .language_version:
      - 2
      - 0
    .max_flat_workgroup_size: 1024
    .name:           _ZN2at6native12_GLOBAL__N_144conv_depthwise3d_cuda_backward_weight_kernelIN3c108BFloat16EfLi2ELi2EEEvN5torch10headeronly6detail27GenericPackedTensorAccessorINS7_14TensorAccessorINS3_8ArrayRefIlEEKT_Lm4ENS6_16DefaultPtrTraitsEiEENS_6detail16IndexBoundsCheckILm5EiEESD_Lm5ESE_iEESJ_NS8_INS9_ISB_SC_Lm4ESE_iEESI_SC_Lm5ESE_iEEiiiiiiiii
    .private_segment_fixed_size: 0
    .sgpr_count:     49
    .sgpr_spill_count: 0
    .symbol:         _ZN2at6native12_GLOBAL__N_144conv_depthwise3d_cuda_backward_weight_kernelIN3c108BFloat16EfLi2ELi2EEEvN5torch10headeronly6detail27GenericPackedTensorAccessorINS7_14TensorAccessorINS3_8ArrayRefIlEEKT_Lm4ENS6_16DefaultPtrTraitsEiEENS_6detail16IndexBoundsCheckILm5EiEESD_Lm5ESE_iEESJ_NS8_INS9_ISB_SC_Lm4ESE_iEESI_SC_Lm5ESE_iEEiiiiiiiii.kd
    .uniform_work_group_size: 1
    .uses_dynamic_stack: false
    .vgpr_count:     19
    .vgpr_spill_count: 0
    .wavefront_size: 32
    .workgroup_processor_mode: 1
  - .args:
      - .offset:         0
        .size:           48
        .value_kind:     by_value
      - .offset:         48
        .size:           48
        .value_kind:     by_value
      - .offset:         96
        .size:           48
        .value_kind:     by_value
      - .offset:         144
        .size:           4
        .value_kind:     by_value
      - .offset:         148
        .size:           4
        .value_kind:     by_value
      - .offset:         152
        .size:           4
        .value_kind:     by_value
      - .offset:         156
        .size:           4
        .value_kind:     by_value
      - .offset:         160
        .size:           4
        .value_kind:     by_value
      - .offset:         164
        .size:           4
        .value_kind:     by_value
      - .offset:         168
        .size:           4
        .value_kind:     by_value
      - .offset:         172
        .size:           4
        .value_kind:     by_value
      - .offset:         176
        .size:           4
        .value_kind:     by_value
      - .offset:         184
        .size:           4
        .value_kind:     hidden_block_count_x
      - .offset:         188
        .size:           4
        .value_kind:     hidden_block_count_y
      - .offset:         192
        .size:           4
        .value_kind:     hidden_block_count_z
      - .offset:         196
        .size:           2
        .value_kind:     hidden_group_size_x
      - .offset:         198
        .size:           2
        .value_kind:     hidden_group_size_y
      - .offset:         200
        .size:           2
        .value_kind:     hidden_group_size_z
      - .offset:         202
        .size:           2
        .value_kind:     hidden_remainder_x
      - .offset:         204
        .size:           2
        .value_kind:     hidden_remainder_y
      - .offset:         206
        .size:           2
        .value_kind:     hidden_remainder_z
      - .offset:         224
        .size:           8
        .value_kind:     hidden_global_offset_x
      - .offset:         232
        .size:           8
        .value_kind:     hidden_global_offset_y
      - .offset:         240
        .size:           8
        .value_kind:     hidden_global_offset_z
      - .offset:         248
        .size:           2
        .value_kind:     hidden_grid_dims
      - .offset:         304
        .size:           4
        .value_kind:     hidden_dynamic_lds_size
    .group_segment_fixed_size: 0
    .kernarg_segment_align: 8
    .kernarg_segment_size: 440
    .language:       OpenCL C
    .language_version:
      - 2
      - 0
    .max_flat_workgroup_size: 1024
    .name:           _ZN2at6native12_GLOBAL__N_144conv_depthwise3d_cuda_backward_weight_kernelIN3c108BFloat16EfLin1ELin1EEEvN5torch10headeronly6detail27GenericPackedTensorAccessorINS7_14TensorAccessorINS3_8ArrayRefIlEEKT_Lm4ENS6_16DefaultPtrTraitsEiEENS_6detail16IndexBoundsCheckILm5EiEESD_Lm5ESE_iEESJ_NS8_INS9_ISB_SC_Lm4ESE_iEESI_SC_Lm5ESE_iEEiiiiiiiii
    .private_segment_fixed_size: 0
    .sgpr_count:     51
    .sgpr_spill_count: 0
    .symbol:         _ZN2at6native12_GLOBAL__N_144conv_depthwise3d_cuda_backward_weight_kernelIN3c108BFloat16EfLin1ELin1EEEvN5torch10headeronly6detail27GenericPackedTensorAccessorINS7_14TensorAccessorINS3_8ArrayRefIlEEKT_Lm4ENS6_16DefaultPtrTraitsEiEENS_6detail16IndexBoundsCheckILm5EiEESD_Lm5ESE_iEESJ_NS8_INS9_ISB_SC_Lm4ESE_iEESI_SC_Lm5ESE_iEEiiiiiiiii.kd
    .uniform_work_group_size: 1
    .uses_dynamic_stack: false
    .vgpr_count:     19
    .vgpr_spill_count: 0
    .wavefront_size: 32
    .workgroup_processor_mode: 1
amdhsa.target:   amdgcn-amd-amdhsa--gfx1030
amdhsa.version:
  - 1
  - 2
...

	.end_amdgpu_metadata
